;; amdgpu-corpus repo=ROCm/aiter kind=harvested arch=n/a opt=n/a

/root/src/amdgpu-assembly/repos/ROCm__aiter/hsa/gfx942/fmoe/silu/fmoe_bf16_blockscaleFp8_g1u1_vs_silu_1tg_64x256.co:	file format elf64-amdgpu

Disassembly of section .text:

0000000000002e00 <_ZN5aiter43fmoe_bf16_blockscaleFp8_g1u1_vs_silu_64x256E>:
	s_and_b32 s1, s1, 0xffff                                   // 000000002E00: 8601FF01 0000FFFF
	s_load_dwordx2 s[8:9], s[0:1], 0x0                         // 000000002E08: C0060200 00000000
	s_load_dwordx2 s[20:21], s[0:1], 0x10                      // 000000002E10: C0060500 00000010
	s_load_dwordx2 s[24:25], s[0:1], 0x20                      // 000000002E18: C0060600 00000020
	s_load_dwordx2 s[50:51], s[0:1], 0x30                      // 000000002E20: C0060C80 00000030
	s_load_dwordx2 s[12:13], s[0:1], 0x40                      // 000000002E28: C0060300 00000040
	s_load_dwordx2 s[28:29], s[0:1], 0x50                      // 000000002E30: C0060700 00000050
	s_load_dwordx2 s[32:33], s[0:1], 0x60                      // 000000002E38: C0060800 00000060
	s_load_dwordx2 s[16:17], s[0:1], 0x70                      // 000000002E40: C0060400 00000070
	s_load_dwordx2 s[36:37], s[0:1], 0x80                      // 000000002E48: C0060900 00000080
	s_load_dwordx2 s[44:45], s[0:1], 0x90                      // 000000002E50: C0060B00 00000090
	s_load_dwordx2 s[40:41], s[0:1], 0xa0                      // 000000002E58: C0060A00 000000A0
	s_load_dwordx2 s[46:47], s[0:1], 0xb0                      // 000000002E60: C0060B80 000000B0
	s_load_dword s60, s[0:1], 0xc0                             // 000000002E68: C0020F00 000000C0
	s_load_dword s61, s[0:1], 0xd0                             // 000000002E70: C0020F40 000000D0
	s_load_dword s62, s[0:1], 0xe0                             // 000000002E78: C0020F80 000000E0
	s_load_dword s63, s[0:1], 0xf0                             // 000000002E80: C0020FC0 000000F0
	s_load_dword s64, s[0:1], 0x100                            // 000000002E88: C0021000 00000100
	s_load_dword s65, s[0:1], 0x110                            // 000000002E90: C0021040 00000110
	s_load_dword s66, s[0:1], 0x120                            // 000000002E98: C0021080 00000120
	s_load_dword s67, s[0:1], 0x130                            // 000000002EA0: C00210C0 00000130
	s_load_dword s68, s[0:1], 0x140                            // 000000002EA8: C0021100 00000140
	s_load_dword s69, s[0:1], 0x150                            // 000000002EB0: C0021140 00000150
	s_load_dword s70, s[0:1], 0x160                            // 000000002EB8: C0021180 00000160
	s_load_dword s71, s[0:1], 0x170                            // 000000002EC0: C00211C0 00000170
	s_load_dword s72, s[0:1], 0x180                            // 000000002EC8: C0021200 00000180
	v_lshrrev_b32_e32 v1, 10, v0                               // 000000002ED0: 2002008A
	v_lshrrev_b32_e32 v2, 10, v1                               // 000000002ED4: 2004028A
	v_and_b32_e32 v2, 0x3ff, v2                                // 000000002ED8: 260404FF 000003FF
	v_and_b32_e32 v1, 0x3ff, v1                                // 000000002EE0: 260202FF 000003FF
	v_and_b32_e32 v0, 0x3ff, v0                                // 000000002EE8: 260000FF 000003FF
	v_lshrrev_b32_e32 v3, 6, v0                                // 000000002EF0: 20060086
	v_and_b32_e32 v0, 63, v0                                   // 000000002EF4: 260000BF
	s_mov_b32 s2, s2                                           // 000000002EF8: BE820002
	s_mov_b32 s3, s3                                           // 000000002EFC: BE830003
	s_mov_b32 s4, s4                                           // 000000002F00: BE840004
	v_readfirstlane_b32 s7, v3                                 // 000000002F04: 7E0E0503
	s_waitcnt lgkmcnt(0)                                       // 000000002F08: BF8CC07F
	s_and_b32 s51, s51, 0xffff                                 // 000000002F0C: 8633FF33 0000FFFF
	s_load_dword s50, s[50:51], 0x0                            // 000000002F14: C0020C99 00000000
	s_and_b32 s45, s45, 0xffff                                 // 000000002F1C: 862DFF2D 0000FFFF
	s_and_b32 s47, s47, 0xffff                                 // 000000002F24: 862FFF2F 0000FFFF
	s_and_b32 s9, s9, 0xffff                                   // 000000002F2C: 8609FF09 0000FFFF
	s_mul_i32 s56, s62, s64                                    // 000000002F34: 9238403E
	s_mul_i32 s57, s62, 4                                      // 000000002F38: 9239843E
	s_mov_b32 s22, s56                                         // 000000002F3C: BE960038
	s_mov_b32 s26, -16                                         // 000000002F40: BE9A00D0
	s_mov_b32 s14, -16                                         // 000000002F44: BE8E00D0
	s_mov_b32 s42, -16                                         // 000000002F48: BEAA00D0
	s_mov_b32 s30, -16                                         // 000000002F4C: BE9E00D0
	s_mov_b32 s34, -16                                         // 000000002F50: BEA200D0
	s_mov_b32 s38, -16                                         // 000000002F54: BEA600D0
	s_mov_b32 s18, -16                                         // 000000002F58: BE9200D0
	s_mov_b32 s23, 0x20000                                     // 000000002F5C: BE9700FF 00020000
	s_mov_b32 s27, 0x20000                                     // 000000002F64: BE9B00FF 00020000
	s_mov_b32 s15, 0x20000                                     // 000000002F6C: BE8F00FF 00020000
	s_mov_b32 s43, 0x20000                                     // 000000002F74: BEAB00FF 00020000
	s_mov_b32 s31, 0x20000                                     // 000000002F7C: BE9F00FF 00020000
	s_mov_b32 s35, 0x20000                                     // 000000002F84: BEA300FF 00020000
	s_mov_b32 s39, 0x20000                                     // 000000002F8C: BEA700FF 00020000
	s_mov_b32 s19, 0x20000                                     // 000000002F94: BE9300FF 00020000
	s_and_b32 s21, s21, 0xffff                                 // 000000002F9C: 8615FF15 0000FFFF
	s_and_b32 s25, s25, 0xffff                                 // 000000002FA4: 8619FF19 0000FFFF
	s_and_b32 s13, s13, 0xffff                                 // 000000002FAC: 860DFF0D 0000FFFF
	s_and_b32 s41, s41, 0xffff                                 // 000000002FB4: 8629FF29 0000FFFF
	s_and_b32 s29, s29, 0xffff                                 // 000000002FBC: 861DFF1D 0000FFFF
	s_and_b32 s33, s33, 0xffff                                 // 000000002FC4: 8621FF21 0000FFFF
	s_and_b32 s37, s37, 0xffff                                 // 000000002FCC: 8625FF25 0000FFFF
	s_and_b32 s17, s17, 0xffff                                 // 000000002FD4: 8611FF11 0000FFFF
	s_or_b32 s21, s21, 0x40000                                 // 000000002FDC: 8715FF15 00040000
	s_or_b32 s25, s25, 0x40000                                 // 000000002FE4: 8719FF19 00040000
	s_or_b32 s13, s13, 0x40000                                 // 000000002FEC: 870DFF0D 00040000
	s_or_b32 s41, s41, 0x40000                                 // 000000002FF4: 8729FF29 00040000
	s_or_b32 s29, s29, 0x40000                                 // 000000002FFC: 871DFF1D 00040000
	s_or_b32 s33, s33, 0x40000                                 // 000000003004: 8721FF21 00040000
	s_or_b32 s37, s37, 0x40000                                 // 00000000300C: 8725FF25 00040000
	s_or_b32 s17, s17, 0x40000                                 // 000000003014: 8711FF11 00040000
	v_accvgpr_write_b32 a255, 0                                // 00000000301C: D3D940FF 18000080
	v_mov_b32_e32 v255, 0                                      // 000000003024: 7FFE0280
	s_waitcnt lgkmcnt(0)                                       // 000000003028: BF8CC07F
	s_mul_i32 s56, s3, 64                                      // 00000000302C: 9238C003
	s_cmp_lt_i32 s56, s50                                      // 000000003030: BF043238
	s_cbranch_scc0 label_347F                                  // 000000003034: BF8433F1
	s_mov_b32 s76, 0                                           // 000000003038: BECC0080
	s_mov_b32 s77, s60                                         // 00000000303C: BECD003C
	s_mul_i32 s56, s3, 4                                       // 000000003040: 92388403
	s_add_u32 s46, s56, s46                                    // 000000003044: 802E2E38
	s_addc_u32 s47, 0, s47                                     // 000000003048: 822F2F80
	s_load_dword s5, s[46:47], 0x0                             // 00000000304C: C0020157 00000000
	s_mul_i32 s56, s3, 64                                      // 000000003054: 9238C003
	s_mul_i32 s56, 4, s56                                      // 000000003058: 92383884
	v_and_b32_e32 v60, 15, v0                                  // 00000000305C: 2678008F
	v_lshlrev_b32_e32 v60, 2, v60                              // 000000003060: 24787882
	v_add_u32_e32 v60, s56, v60                                // 000000003064: 68787838
	global_load_dword v9, v60, s[44:45]                        // 000000003068: DC508000 092C003C
	v_add_u32_e32 v60, 64, v60                                 // 000000003070: 687878C0
	global_load_dword v10, v60, s[44:45]                       // 000000003074: DC508000 0A2C003C
	v_add_u32_e32 v60, 64, v60                                 // 00000000307C: 687878C0
	global_load_dword v11, v60, s[44:45]                       // 000000003080: DC508000 0B2C003C
	v_add_u32_e32 v60, 64, v60                                 // 000000003088: 687878C0
	global_load_dword v12, v60, s[44:45]                       // 00000000308C: DC508000 0C2C003C
	s_mul_i32 s56, s3, 64                                      // 000000003094: 9238C003
	s_add_u32 s56, s7, s56                                     // 000000003098: 80383807
	s_mul_i32 s56, 4, s56                                      // 00000000309C: 92383884
	s_add_u32 s44, s56, s44                                    // 0000000030A0: 802C2C38
	s_addc_u32 s45, 0, s45                                     // 0000000030A4: 822D2D80
	s_load_dword s78, s[44:45], 0x0                            // 0000000030A8: C0021396 00000000
	s_load_dword s79, s[44:45], 0x10                           // 0000000030B0: C00213D6 00000010
	s_load_dword s80, s[44:45], 0x20                           // 0000000030B8: C0021416 00000020
	s_load_dword s81, s[44:45], 0x30                           // 0000000030C0: C0021456 00000030
	s_load_dword s82, s[44:45], 0x40                           // 0000000030C8: C0021496 00000040
	s_load_dword s83, s[44:45], 0x50                           // 0000000030D0: C00214D6 00000050
	s_load_dword s84, s[44:45], 0x60                           // 0000000030D8: C0021516 00000060
	s_load_dword s85, s[44:45], 0x70                           // 0000000030E0: C0021556 00000070
	s_load_dword s86, s[44:45], 0x80                           // 0000000030E8: C0021596 00000080
	s_load_dword s87, s[44:45], 0x90                           // 0000000030F0: C00215D6 00000090
	s_load_dword s88, s[44:45], 0xa0                           // 0000000030F8: C0021616 000000A0
	s_load_dword s89, s[44:45], 0xb0                           // 000000003100: C0021656 000000B0
	s_load_dword s90, s[44:45], 0xc0                           // 000000003108: C0021696 000000C0
	s_load_dword s91, s[44:45], 0xd0                           // 000000003110: C00216D6 000000D0
	s_load_dword s92, s[44:45], 0xe0                           // 000000003118: C0021716 000000E0
	s_load_dword s93, s[44:45], 0xf0                           // 000000003120: C0021756 000000F0
	s_waitcnt lgkmcnt(0)                                       // 000000003128: BF8CC07F
	v_lshlrev_b32_e32 v60, 2, v0                               // 00000000312C: 24780082
	s_and_b32 s78, s78, 0xffffff                               // 000000003130: 864EFF4E 00FFFFFF
	s_mul_i32 s56, s78, s64                                    // 000000003138: 9238404E
	v_add_u32_e64 v43, v60, s56                                // 00000000313C: D134002B 0000713C
	s_and_b32 s79, s79, 0xffffff                               // 000000003144: 864FFF4F 00FFFFFF
	s_mul_i32 s56, s79, s64                                    // 00000000314C: 9238404F
	v_add_u32_e64 v44, v60, s56                                // 000000003150: D134002C 0000713C
	s_and_b32 s80, s80, 0xffffff                               // 000000003158: 8650FF50 00FFFFFF
	s_mul_i32 s56, s80, s64                                    // 000000003160: 92384050
	s_and_b32 s81, s81, 0xffffff                               // 000000003164: 8651FF51 00FFFFFF
	s_mul_i32 s56, s81, s64                                    // 00000000316C: 92384051
	s_and_b32 s82, s82, 0xffffff                               // 000000003170: 8652FF52 00FFFFFF
	s_mul_i32 s56, s82, s64                                    // 000000003178: 92384052
	s_and_b32 s83, s83, 0xffffff                               // 00000000317C: 8653FF53 00FFFFFF
	s_mul_i32 s56, s83, s64                                    // 000000003184: 92384053
	s_and_b32 s84, s84, 0xffffff                               // 000000003188: 8654FF54 00FFFFFF
	s_mul_i32 s56, s84, s64                                    // 000000003190: 92384054
	s_and_b32 s85, s85, 0xffffff                               // 000000003194: 8655FF55 00FFFFFF
	s_mul_i32 s56, s85, s64                                    // 00000000319C: 92384055
	s_and_b32 s86, s86, 0xffffff                               // 0000000031A0: 8656FF56 00FFFFFF
	s_mul_i32 s56, s86, s64                                    // 0000000031A8: 92384056
	s_and_b32 s87, s87, 0xffffff                               // 0000000031AC: 8657FF57 00FFFFFF
	s_mul_i32 s56, s87, s64                                    // 0000000031B4: 92384057
	s_and_b32 s88, s88, 0xffffff                               // 0000000031B8: 8658FF58 00FFFFFF
	s_mul_i32 s56, s88, s64                                    // 0000000031C0: 92384058
	s_and_b32 s89, s89, 0xffffff                               // 0000000031C4: 8659FF59 00FFFFFF
	s_mul_i32 s56, s89, s64                                    // 0000000031CC: 92384059
	s_and_b32 s90, s90, 0xffffff                               // 0000000031D0: 865AFF5A 00FFFFFF
	s_mul_i32 s56, s90, s64                                    // 0000000031D8: 9238405A
	s_and_b32 s91, s91, 0xffffff                               // 0000000031DC: 865BFF5B 00FFFFFF
	s_mul_i32 s56, s91, s64                                    // 0000000031E4: 9238405B
	s_and_b32 s92, s92, 0xffffff                               // 0000000031E8: 865CFF5C 00FFFFFF
	s_mul_i32 s56, s92, s64                                    // 0000000031F0: 9238405C
	s_and_b32 s93, s93, 0xffffff                               // 0000000031F4: 865DFF5D 00FFFFFF
	s_mul_i32 s56, s93, s64                                    // 0000000031FC: 9238405D
	v_lshlrev_b32_e32 v60, 2, v0                               // 000000003200: 24780082
	s_mul_i32 s56, s78, s67                                    // 000000003204: 9238434E
	v_add_u32_e64 v96, v60, s56                                // 000000003208: D1340060 0000713C
	v_mov_b32_e32 v97, 0                                       // 000000003210: 7EC20280
	s_mul_i32 s56, s79, s67                                    // 000000003214: 9238434F
	v_add_u32_e64 v98, v60, s56                                // 000000003218: D1340062 0000713C
	v_mov_b32_e32 v99, 0                                       // 000000003220: 7EC60280
	s_mul_i32 s56, s80, s67                                    // 000000003224: 92384350
	v_add_u32_e64 v100, v60, s56                               // 000000003228: D1340064 0000713C
	v_mov_b32_e32 v101, 0                                      // 000000003230: 7ECA0280
	s_mul_i32 s56, s81, s67                                    // 000000003234: 92384351
	v_add_u32_e64 v102, v60, s56                               // 000000003238: D1340066 0000713C
	v_mov_b32_e32 v103, 0                                      // 000000003240: 7ECE0280
	s_mul_i32 s56, s82, s67                                    // 000000003244: 92384352
	v_add_u32_e64 v104, v60, s56                               // 000000003248: D1340068 0000713C
	v_mov_b32_e32 v105, 0                                      // 000000003250: 7ED20280
	s_mul_i32 s56, s83, s67                                    // 000000003254: 92384353
	v_add_u32_e64 v106, v60, s56                               // 000000003258: D134006A 0000713C
	v_mov_b32_e32 v107, 0                                      // 000000003260: 7ED60280
	s_mul_i32 s56, s84, s67                                    // 000000003264: 92384354
	v_add_u32_e64 v108, v60, s56                               // 000000003268: D134006C 0000713C
	v_mov_b32_e32 v109, 0                                      // 000000003270: 7EDA0280
	s_mul_i32 s56, s85, s67                                    // 000000003274: 92384355
	v_add_u32_e64 v110, v60, s56                               // 000000003278: D134006E 0000713C
	v_mov_b32_e32 v111, 0                                      // 000000003280: 7EDE0280
	s_mul_i32 s56, s86, s67                                    // 000000003284: 92384356
	v_add_u32_e64 v112, v60, s56                               // 000000003288: D1340070 0000713C
	v_mov_b32_e32 v113, 0                                      // 000000003290: 7EE20280
	s_mul_i32 s56, s87, s67                                    // 000000003294: 92384357
	v_add_u32_e64 v114, v60, s56                               // 000000003298: D1340072 0000713C
	v_mov_b32_e32 v115, 0                                      // 0000000032A0: 7EE60280
	s_mul_i32 s56, s88, s67                                    // 0000000032A4: 92384358
	v_add_u32_e64 v116, v60, s56                               // 0000000032A8: D1340074 0000713C
	v_mov_b32_e32 v117, 0                                      // 0000000032B0: 7EEA0280
	s_mul_i32 s56, s89, s67                                    // 0000000032B4: 92384359
	v_add_u32_e64 v118, v60, s56                               // 0000000032B8: D1340076 0000713C
	v_mov_b32_e32 v119, 0                                      // 0000000032C0: 7EEE0280
	s_mul_i32 s56, s90, s67                                    // 0000000032C4: 9238435A
	v_add_u32_e64 v120, v60, s56                               // 0000000032C8: D1340078 0000713C
	v_mov_b32_e32 v121, 0                                      // 0000000032D0: 7EF20280
	s_mul_i32 s56, s91, s67                                    // 0000000032D4: 9238435B
	v_add_u32_e64 v122, v60, s56                               // 0000000032D8: D134007A 0000713C
	v_mov_b32_e32 v123, 0                                      // 0000000032E0: 7EF60280
	s_mul_i32 s56, s92, s67                                    // 0000000032E4: 9238435C
	v_add_u32_e64 v124, v60, s56                               // 0000000032E8: D134007C 0000713C
	v_mov_b32_e32 v125, 0                                      // 0000000032F0: 7EFA0280
	s_mul_i32 s56, s93, s67                                    // 0000000032F4: 9238435D
	v_add_u32_e64 v126, v60, s56                               // 0000000032F8: D134007E 0000713C
	v_mov_b32_e32 v127, 0                                      // 000000003300: 7EFE0280
	s_mul_i32 s56, s7, 0x1020                                  // 000000003304: 9238FF07 00001020
	s_add_u32 s48, 0, s56                                      // 00000000330C: 80303880
	s_add_u32 s49, 0x4880, s48                                 // 000000003310: 803130FF 00004880
	v_lshrrev_b32_e32 v60, 4, v0                               // 000000003318: 20780084
	v_lshlrev_b32_e32 v61, 2, v60                              // 00000000331C: 247A7882
	v_and_b32_e32 v60, 15, v0                                  // 000000003320: 2678008F
	v_lshrrev_b32_e32 v62, 2, v60                              // 000000003324: 207C7882
	v_lshlrev_b32_e32 v62, 6, v62                              // 000000003328: 247C7C86
	v_add_u32_e32 v61, v62, v61                                // 00000000332C: 687A7B3E
	v_and_b32_e32 v60, 3, v0                                   // 000000003330: 26780083
	v_mul_i32_i24_e32 v62, 0x408, v60                          // 000000003334: 0C7C78FF 00000408
	v_add_u32_e32 v61, v62, v61                                // 00000000333C: 687A7B3E
	v_lshlrev_b32_e32 v2, 2, v61                               // 000000003340: 24047A82
	s_mul_i32 s56, s2, 0x100                                   // 000000003344: 9238FF02 00000100
	s_mul_i32 s56, s56, s65                                    // 00000000334C: 92384138
	s_mul_i32 s57, s5, s68                                     // 000000003350: 92394405
	s_add_u32 s56, s57, s56                                    // 000000003354: 80383839
	s_add_u32 s24, s56, s24                                    // 000000003358: 80181838
	s_addc_u32 s25, 0, s25                                     // 00000000335C: 82191980
	s_mul_i32 s56, s7, 16                                      // 000000003360: 92389007
	s_mul_i32 s56, s56, s65                                    // 000000003364: 92384138
	v_lshlrev_b32_e32 v47, 4, v0                               // 000000003368: 245E0084
	v_add_u32_e32 v47, s56, v47                                // 00000000336C: 685E5E38
	s_mul_i32 s56, 64, s65                                     // 000000003370: 923841C0
	v_add_u32_e32 v48, s56, v47                                // 000000003374: 68605E38
	v_add_u32_e32 v49, s56, v48                                // 000000003378: 68626038
	v_add_u32_e32 v50, s56, v49                                // 00000000337C: 68646238
	s_mov_b32 s96, s24                                         // 000000003380: BEE00018
	s_mov_b32 s97, s25                                         // 000000003384: BEE10019
	s_mov_b32 s98, s26                                         // 000000003388: BEE2001A
	s_mov_b32 s99, s27                                         // 00000000338C: BEE3001B
	s_mul_i32 s56, s65, s61                                    // 000000003390: 92383D41
	s_add_u32 s96, s56, s96                                    // 000000003394: 80606038
	s_addc_u32 s97, 0, s97                                     // 000000003398: 82616180
	s_mul_i32 s56, s2, 0x1000                                  // 00000000339C: 9238FF02 00001000
	s_mul_i32 s57, s5, s69                                     // 0000000033A4: 92394505
	s_add_u32 s56, s57, s56                                    // 0000000033A8: 80383839
	s_add_u32 s12, s56, s12                                    // 0000000033AC: 800C0C38
	s_addc_u32 s13, 0, s13                                     // 0000000033B0: 820D0D80
	s_mul_i32 s56, s7, 16                                      // 0000000033B4: 92389007
	s_mul_i32 s56, s56, s66                                    // 0000000033B8: 92384238
	v_lshlrev_b32_e32 v51, 4, v0                               // 0000000033BC: 24660084
	v_add_u32_e32 v51, s56, v51                                // 0000000033C0: 68666638
	s_mul_i32 s56, 64, s66                                     // 0000000033C4: 923842C0
	v_add_u32_e32 v52, s56, v51                                // 0000000033C8: 68686638
	v_add_u32_e32 v53, s56, v52                                // 0000000033CC: 686A6838
	v_add_u32_e32 v54, s56, v53                                // 0000000033D0: 686C6A38
	s_mul_i32 s56, s66, 0x100                                  // 0000000033D4: 9238FF42 00000100
	s_mov_b32 s74, 0x400                                       // 0000000033DC: BECA00FF 00000400
	s_mul_i32 s57, s74, 3                                      // 0000000033E4: 9239834A
	s_sub_u32 s52, s56, s57                                    // 0000000033E8: 80B43938
	s_mul_i32 s56, s3, 64                                      // 0000000033EC: 9238C003
	s_mul_i32 s56, 4, s56                                      // 0000000033F0: 92383884
	s_add_u32 s40, s56, s40                                    // 0000000033F4: 80282838
	s_addc_u32 s41, 0, s41                                     // 0000000033F8: 82292980
	v_and_b32_e32 v60, 15, v0                                  // 0000000033FC: 2678008F
	v_lshlrev_b32_e32 v13, 2, v60                              // 000000003400: 241A7882
	v_add_u32_e32 v14, 64, v13                                 // 000000003404: 681C1AC0
	v_add_u32_e32 v15, 64, v14                                 // 000000003408: 681E1CC0
	v_add_u32_e32 v16, 64, v15                                 // 00000000340C: 68201EC0
	s_lshr_b32 s56, s60, 7                                     // 000000003410: 8F38873C
	s_mul_i32 s57, s56, 4                                      // 000000003414: 92398438
	v_and_b32_e64 v17, v0, 1                                   // 000000003418: D1130011 00010300
	v_mul_i32_i24_e64 v17, v17, s57                            // 000000003420: D1060011 00007311
	v_and_b32_e64 v60, v0, 3                                   // 000000003428: D113003C 00010700
	v_lshrrev_b32_e32 v60, 1, v60                              // 000000003430: 20787881
	v_mul_i32_i24_e32 v60, 4, v60                              // 000000003434: 0C787884
	v_add_u32_e32 v17, v17, v60                                // 000000003438: 68227911
	s_lshr_b32 s56, s61, 7                                     // 00000000343C: 8F38873D
	s_mul_i32 s56, s56, s57                                    // 000000003440: 92383938
	v_add_u32_e64 v19, v17, s56                                // 000000003444: D1340013 00007111
	s_mov_b32 s4, 8                                            // 00000000344C: BE840088
	s_mul_i32 s56, s2, 2                                       // 000000003450: 92388202
	s_mul_i32 s56, s56, s57                                    // 000000003454: 92383938
	s_mul_i32 s57, s5, s70                                     // 000000003458: 92394605
	s_add_u32 s57, s57, s56                                    // 00000000345C: 80393839
	s_add_u32 s32, s57, s32                                    // 000000003460: 80202039
	s_addc_u32 s33, 0, s33                                     // 000000003464: 82212180
	s_lshr_b32 s56, s61, 7                                     // 000000003468: 8F38873D
	s_mul_i32 s57, s56, 4                                      // 00000000346C: 92398438
	s_mul_i32 s56, s2, 2                                       // 000000003470: 92388202
	s_mul_i32 s56, s56, 4                                      // 000000003474: 92388438
	v_and_b32_e64 v8, v0, 1                                    // 000000003478: D1130008 00010300
	v_mul_i32_i24_e64 v8, v8, s57                              // 000000003480: D1060008 00007308
	v_and_b32_e64 v60, v0, 3                                   // 000000003488: D113003C 00010700
	v_lshrrev_b32_e32 v60, 1, v60                              // 000000003490: 20787881
	v_mul_i32_i24_e32 v60, 4, v60                              // 000000003494: 0C787884
	v_add_i32 v8, v8, v60                                      // 000000003498: D29C0008 00027908
	v_add_i32 v8, v8, s56                                      // 0000000034A0: D29C0008 00007108
	s_mul_i32 s56, s5, s71                                     // 0000000034A8: 92384705
	s_add_u32 s16, s56, s16                                    // 0000000034AC: 80101038
	s_addc_u32 s17, 0, s17                                     // 0000000034B0: 82111180
	s_mov_b32 s53, 0x100                                       // 0000000034B4: BEB500FF 00000100
	s_mov_b32 s54, 0x1000                                      // 0000000034BC: BEB600FF 00001000
	s_mul_i32 s75, 2, s57                                      // 0000000034C4: 924B3982
	s_mov_b32 s55, 0x200                                       // 0000000034C8: BEB700FF 00000200
	s_mov_b32 s94, s54                                         // 0000000034D0: BEDE0036
	s_mov_b32 s6, 0x3fb8aa3b                                   // 0000000034D4: BE8600FF 3FB8AA3B
	s_mov_b32 m0, s48                                          // 0000000034DC: BEFC0030
	v_mov_b32_e32 v1, 0xbfcc4231                               // 0000000034E0: 7E0202FF BFCC4231
	v_mov_b32_e32 v56, 0xffff0000                              // 0000000034E8: 7E7002FF FFFF0000
	v_mov_b32_e32 v57, 0x7fff0000                              // 0000000034F0: 7E7202FF 7FFF0000
	v_mov_b32_e32 v58, 0x7fff                                  // 0000000034F8: 7E7402FF 00007FFF
	s_waitcnt vmcnt(0) expcnt(0) lgkmcnt(0)                    // 000000003500: BF8C0000
	v_and_b32_e32 v9, 0xffffff, v9                             // 000000003504: 261212FF 00FFFFFF
	v_lshlrev_b32_e32 v9, 2, v9                                // 00000000350C: 24121282
	v_and_b32_e32 v10, 0xffffff, v10                           // 000000003510: 261414FF 00FFFFFF
	v_lshlrev_b32_e32 v10, 2, v10                              // 000000003518: 24141482
	v_and_b32_e32 v11, 0xffffff, v11                           // 00000000351C: 261616FF 00FFFFFF
	v_lshlrev_b32_e32 v11, 2, v11                              // 000000003524: 24161682
	v_and_b32_e32 v12, 0xffffff, v12                           // 000000003528: 261818FF 00FFFFFF
	v_lshlrev_b32_e32 v12, 2, v12                              // 000000003530: 24181882
	s_lshr_b32 s56, s7, 1                                      // 000000003534: 8F388107
	s_lshl_b32 s3, s62, 2                                      // 000000003538: 8E03823E
	s_mul_i32 s56, s56, s3                                     // 00000000353C: 92380338
	s_add_u32 s28, s28, s56                                    // 000000003540: 801C381C
	s_addc_u32 s29, 0, s29                                     // 000000003544: 821D1D80
	s_mov_b32 s30, s3                                          // 000000003548: BE9E0003
	s_lshl_b32 s3, s3, 1                                       // 00000000354C: 8E038103
	s_and_b32 s57, s7, 1                                       // 000000003550: 86398107
	s_cmp_eq_u32 s57, 1                                        // 000000003554: BF068139
	s_cselect_b32 s56, 0, 1                                    // 000000003558: 85388180
	v_mul_lo_u32 v60, v9, s56                                  // 00000000355C: D285003C 00007109
	v_mul_lo_u32 v61, v10, s57                                 // 000000003564: D285003D 0000730A
	v_add_u32_e32 v60, v60, v61                                // 00000000356C: 68787B3C
	v_mov_b32_e32 v9, v60                                      // 000000003570: 7E12033C
	v_mul_lo_u32 v60, v11, s56                                 // 000000003574: D285003C 0000710B
	v_mul_lo_u32 v61, v12, s57                                 // 00000000357C: D285003D 0000730C
	v_add_u32_e32 v60, v60, v61                                // 000000003584: 68787B3C
	v_mov_b32_e32 v11, v60                                     // 000000003588: 7E16033C
	s_mul_i32 s56, s7, 0x100                                   // 00000000358C: 9238FF07 00000100
	s_sub_u32 s57, 4, s7                                       // 000000003594: 80B90784
	s_mul_i32 s57, s57, 0x1020                                 // 000000003598: 9239FF39 00001020
	s_add_u32 s72, s56, s57                                    // 0000000035A0: 80483938
	v_lshlrev_b32_e32 v3, 2, v0                                // 0000000035A4: 24060082
	buffer_load_dword v37, v17, s[32:35], 0 offen              // 0000000035A8: E0501000 80082511
	buffer_load_dword v39, v13, s[40:43], 0 offen              // 0000000035B0: E0501000 800A270D
	buffer_load_dword v40, v14, s[40:43], 0 offen              // 0000000035B8: E0501000 800A280E
	buffer_load_dword v41, v15, s[40:43], 0 offen              // 0000000035C0: E0501000 800A290F
	buffer_load_dword v42, v16, s[40:43], 0 offen              // 0000000035C8: E0501000 800A2A10
	buffer_load_dword v43, s[20:23], 0 offen lds               // 0000000035D0: E0511000 8005002B
	s_mul_i32 s56, s80, s64                                    // 0000000035D8: 92384050
	v_lshl_add_u32 v45, v0, 2, s56                             // 0000000035DC: D1FD002D 00E10500
	s_add_u32 m0, 0x100, s48                                   // 0000000035E4: 807C30FF 00000100
	buffer_load_dword v44, s[20:23], 0 offen lds               // 0000000035EC: E0511000 8005002C
	s_mul_i32 s56, s81, s64                                    // 0000000035F4: 92384051
	v_lshl_add_u32 v46, v0, 2, s56                             // 0000000035F8: D1FD002E 00E10500
	s_add_u32 m0, 0x200, s48                                   // 000000003600: 807C30FF 00000200
	buffer_load_dword v45, s[20:23], 0 offen lds               // 000000003608: E0511000 8005002D
	s_mul_i32 s56, s82, s64                                    // 000000003610: 92384052
	v_lshl_add_u32 v43, v0, 2, s56                             // 000000003614: D1FD002B 00E10500
	s_add_u32 m0, 0x300, s48                                   // 00000000361C: 807C30FF 00000300
	buffer_load_dword v46, s[20:23], 0 offen lds               // 000000003624: E0511000 8005002E
	s_mul_i32 s56, s83, s64                                    // 00000000362C: 92384053
	v_lshl_add_u32 v44, v0, 2, s56                             // 000000003630: D1FD002C 00E10500
	s_add_u32 m0, 0x400, s48                                   // 000000003638: 807C30FF 00000400
	buffer_load_dword v43, s[20:23], 0 offen lds               // 000000003640: E0511000 8005002B
	s_mul_i32 s56, s84, s64                                    // 000000003648: 92384054
	v_lshl_add_u32 v45, v0, 2, s56                             // 00000000364C: D1FD002D 00E10500
	s_add_u32 m0, 0x500, s48                                   // 000000003654: 807C30FF 00000500
	buffer_load_dword v44, s[20:23], 0 offen lds               // 00000000365C: E0511000 8005002C
	s_mul_i32 s56, s85, s64                                    // 000000003664: 92384055
	v_lshl_add_u32 v46, v0, 2, s56                             // 000000003668: D1FD002E 00E10500
	s_add_u32 m0, 0x600, s48                                   // 000000003670: 807C30FF 00000600
	buffer_load_dword v45, s[20:23], 0 offen lds               // 000000003678: E0511000 8005002D
	s_mul_i32 s56, s86, s64                                    // 000000003680: 92384056
	v_lshl_add_u32 v43, v0, 2, s56                             // 000000003684: D1FD002B 00E10500
	s_add_u32 m0, 0x700, s48                                   // 00000000368C: 807C30FF 00000700
	buffer_load_dword v46, s[20:23], 0 offen lds               // 000000003694: E0511000 8005002E
	s_mul_i32 s56, s87, s64                                    // 00000000369C: 92384057
	v_lshl_add_u32 v44, v0, 2, s56                             // 0000000036A0: D1FD002C 00E10500
	s_add_u32 m0, 0x800, s48                                   // 0000000036A8: 807C30FF 00000800
	buffer_load_dword v43, s[20:23], 0 offen lds               // 0000000036B0: E0511000 8005002B
	s_mul_i32 s56, s88, s64                                    // 0000000036B8: 92384058
	v_lshl_add_u32 v45, v0, 2, s56                             // 0000000036BC: D1FD002D 00E10500
	s_add_u32 m0, 0x900, s48                                   // 0000000036C4: 807C30FF 00000900
	buffer_load_dword v44, s[20:23], 0 offen lds               // 0000000036CC: E0511000 8005002C
	s_mul_i32 s56, s89, s64                                    // 0000000036D4: 92384059
	v_lshl_add_u32 v46, v0, 2, s56                             // 0000000036D8: D1FD002E 00E10500
	s_add_u32 m0, 0xa00, s48                                   // 0000000036E0: 807C30FF 00000A00
	buffer_load_dword v45, s[20:23], 0 offen lds               // 0000000036E8: E0511000 8005002D
	s_mul_i32 s56, s90, s64                                    // 0000000036F0: 9238405A
	v_lshl_add_u32 v43, v0, 2, s56                             // 0000000036F4: D1FD002B 00E10500
	s_add_u32 m0, 0xb00, s48                                   // 0000000036FC: 807C30FF 00000B00
	buffer_load_dword v46, s[20:23], 0 offen lds               // 000000003704: E0511000 8005002E
	s_mul_i32 s56, s91, s64                                    // 00000000370C: 9238405B
	v_lshl_add_u32 v44, v0, 2, s56                             // 000000003710: D1FD002C 00E10500
	s_add_u32 m0, 0xc00, s48                                   // 000000003718: 807C30FF 00000C00
	buffer_load_dword v43, s[20:23], 0 offen lds               // 000000003720: E0511000 8005002B
	s_mul_i32 s56, s92, s64                                    // 000000003728: 9238405C
	v_lshl_add_u32 v45, v0, 2, s56                             // 00000000372C: D1FD002D 00E10500
	s_add_u32 m0, 0xd00, s48                                   // 000000003734: 807C30FF 00000D00
	buffer_load_dword v44, s[20:23], 0 offen lds               // 00000000373C: E0511000 8005002C
	s_mul_i32 s56, s93, s64                                    // 000000003744: 9238405D
	v_lshl_add_u32 v46, v0, 2, s56                             // 000000003748: D1FD002E 00E10500
	s_add_u32 m0, 0xe00, s48                                   // 000000003750: 807C30FF 00000E00
	buffer_load_dword v45, s[20:23], 0 offen lds               // 000000003758: E0511000 8005002D
	s_mul_i32 s56, s78, s64                                    // 000000003760: 9238404E
	v_lshl_add_u32 v43, v0, 2, s56                             // 000000003764: D1FD002B 00E10500
	s_add_u32 m0, 0xf00, s48                                   // 00000000376C: 807C30FF 00000F00
	buffer_load_dword v46, s[20:23], 0 offen lds               // 000000003774: E0511000 8005002E
	s_mul_i32 s56, s79, s64                                    // 00000000377C: 9238404F
	v_lshl_add_u32 v44, v0, 2, s56                             // 000000003780: D1FD002C 00E10500
	s_add_u32 m0, s48, s72                                     // 000000003788: 807C4830
	buffer_load_dword v9, s[28:31], 0 offen lds                // 00000000378C: E0511000 80070009
	s_add_u32 m0, m0, 0x400                                    // 000000003794: 807CFF7C 00000400
	buffer_load_dword v11, s[28:31], 0 offen lds               // 00000000379C: E0511000 8007000B
	s_add_u32 m0, 0, s49                                       // 0000000037A4: 807C3180
	s_add_u32 s20, s53, s20                                    // 0000000037A8: 80141435
	s_addc_u32 s21, 0, s21                                     // 0000000037AC: 82151580
	s_add_u32 s28, s3, s28                                     // 0000000037B0: 801C1C03
	s_addc_u32 s29, 0, s29                                     // 0000000037B4: 821D1D80
	buffer_load_dwordx4 a[0:3], v47, s[24:27], 0 offen         // 0000000037B8: E05C1000 8086002F
	buffer_load_dwordx4 a[4:7], v47, s[24:27], 0 offen offset:1024// 0000000037C0: E05C1400 8086042F
	buffer_load_dwordx4 a[16:19], v48, s[24:27], 0 offen       // 0000000037C8: E05C1000 80861030
	buffer_load_dwordx4 a[20:23], v48, s[24:27], 0 offen offset:1024// 0000000037D0: E05C1400 80861430
	buffer_load_dwordx4 a[32:35], v49, s[24:27], 0 offen       // 0000000037D8: E05C1000 80862031
	buffer_load_dwordx4 a[36:39], v49, s[24:27], 0 offen offset:1024// 0000000037E0: E05C1400 80862431
	buffer_load_dwordx4 a[48:51], v50, s[24:27], 0 offen       // 0000000037E8: E05C1000 80863032
	buffer_load_dwordx4 a[52:55], v50, s[24:27], 0 offen offset:1024// 0000000037F0: E05C1400 80863432
	buffer_load_dwordx4 a[8:11], v47, s[24:27], 0 offen offset:2048// 0000000037F8: E05C1800 8086082F
	buffer_load_dwordx4 a[12:15], v47, s[24:27], 0 offen offset:3072// 000000003800: E05C1C00 80860C2F
	buffer_load_dwordx4 a[24:27], v48, s[24:27], 0 offen offset:2048// 000000003808: E05C1800 80861830
	buffer_load_dwordx4 a[28:31], v48, s[24:27], 0 offen offset:3072// 000000003810: E05C1C00 80861C30
	buffer_load_dwordx4 a[40:43], v49, s[24:27], 0 offen offset:2048// 000000003818: E05C1800 80862831
	buffer_load_dwordx4 a[44:47], v49, s[24:27], 0 offen offset:3072// 000000003820: E05C1C00 80862C31
	buffer_load_dwordx4 a[56:59], v50, s[24:27], 0 offen offset:2048// 000000003828: E05C1800 80863832
	buffer_load_dwordx4 a[60:63], v50, s[24:27], 0 offen offset:3072// 000000003830: E05C1C00 80863C32
	s_add_u32 s24, s54, s24                                    // 000000003838: 80181836
	s_addc_u32 s25, 0, s25                                     // 00000000383C: 82191980
	v_mov_b32_e32 v64, 0                                       // 000000003840: 7E800280
	v_mov_b32_e32 v128, 0                                      // 000000003844: 7F000280
	v_mov_b32_e32 v65, 0                                       // 000000003848: 7E820280
	v_mov_b32_e32 v129, 0                                      // 00000000384C: 7F020280
	v_mov_b32_e32 v66, 0                                       // 000000003850: 7E840280
	v_mov_b32_e32 v130, 0                                      // 000000003854: 7F040280
	v_mov_b32_e32 v67, 0                                       // 000000003858: 7E860280
	v_mov_b32_e32 v131, 0                                      // 00000000385C: 7F060280
	v_mov_b32_e32 v68, 0                                       // 000000003860: 7E880280
	v_mov_b32_e32 v132, 0                                      // 000000003864: 7F080280
	v_mov_b32_e32 v69, 0                                       // 000000003868: 7E8A0280
	v_mov_b32_e32 v133, 0                                      // 00000000386C: 7F0A0280
	v_mov_b32_e32 v70, 0                                       // 000000003870: 7E8C0280
	v_mov_b32_e32 v134, 0                                      // 000000003874: 7F0C0280
	v_mov_b32_e32 v71, 0                                       // 000000003878: 7E8E0280
	v_mov_b32_e32 v135, 0                                      // 00000000387C: 7F0E0280
	v_mov_b32_e32 v72, 0                                       // 000000003880: 7E900280
	v_mov_b32_e32 v136, 0                                      // 000000003884: 7F100280
	v_mov_b32_e32 v73, 0                                       // 000000003888: 7E920280
	v_mov_b32_e32 v137, 0                                      // 00000000388C: 7F120280
	v_mov_b32_e32 v74, 0                                       // 000000003890: 7E940280
	v_mov_b32_e32 v138, 0                                      // 000000003894: 7F140280
	v_mov_b32_e32 v75, 0                                       // 000000003898: 7E960280
	v_mov_b32_e32 v139, 0                                      // 00000000389C: 7F160280
	v_mov_b32_e32 v76, 0                                       // 0000000038A0: 7E980280
	v_mov_b32_e32 v140, 0                                      // 0000000038A4: 7F180280
	v_mov_b32_e32 v77, 0                                       // 0000000038A8: 7E9A0280
	v_mov_b32_e32 v141, 0                                      // 0000000038AC: 7F1A0280
	v_mov_b32_e32 v78, 0                                       // 0000000038B0: 7E9C0280
	v_mov_b32_e32 v142, 0                                      // 0000000038B4: 7F1C0280
	v_mov_b32_e32 v79, 0                                       // 0000000038B8: 7E9E0280
	v_mov_b32_e32 v143, 0                                      // 0000000038BC: 7F1E0280
	v_mov_b32_e32 v80, 0                                       // 0000000038C0: 7EA00280
	v_mov_b32_e32 v144, 0                                      // 0000000038C4: 7F200280
	v_mov_b32_e32 v81, 0                                       // 0000000038C8: 7EA20280
	v_mov_b32_e32 v145, 0                                      // 0000000038CC: 7F220280
	v_mov_b32_e32 v82, 0                                       // 0000000038D0: 7EA40280
	v_mov_b32_e32 v146, 0                                      // 0000000038D4: 7F240280
	v_mov_b32_e32 v83, 0                                       // 0000000038D8: 7EA60280
	v_mov_b32_e32 v147, 0                                      // 0000000038DC: 7F260280
	v_mov_b32_e32 v84, 0                                       // 0000000038E0: 7EA80280
	v_mov_b32_e32 v148, 0                                      // 0000000038E4: 7F280280
	v_mov_b32_e32 v85, 0                                       // 0000000038E8: 7EAA0280
	v_mov_b32_e32 v149, 0                                      // 0000000038EC: 7F2A0280
	v_mov_b32_e32 v86, 0                                       // 0000000038F0: 7EAC0280
	v_mov_b32_e32 v150, 0                                      // 0000000038F4: 7F2C0280
	v_mov_b32_e32 v87, 0                                       // 0000000038F8: 7EAE0280
	v_mov_b32_e32 v151, 0                                      // 0000000038FC: 7F2E0280
	v_mov_b32_e32 v88, 0                                       // 000000003900: 7EB00280
	v_mov_b32_e32 v152, 0                                      // 000000003904: 7F300280
	v_mov_b32_e32 v89, 0                                       // 000000003908: 7EB20280
	v_mov_b32_e32 v153, 0                                      // 00000000390C: 7F320280
	v_mov_b32_e32 v90, 0                                       // 000000003910: 7EB40280
	v_mov_b32_e32 v154, 0                                      // 000000003914: 7F340280
	v_mov_b32_e32 v91, 0                                       // 000000003918: 7EB60280
	v_mov_b32_e32 v155, 0                                      // 00000000391C: 7F360280
	v_mov_b32_e32 v92, 0                                       // 000000003920: 7EB80280
	v_mov_b32_e32 v156, 0                                      // 000000003924: 7F380280
	v_mov_b32_e32 v93, 0                                       // 000000003928: 7EBA0280
	v_mov_b32_e32 v157, 0                                      // 00000000392C: 7F3A0280
	v_mov_b32_e32 v94, 0                                       // 000000003930: 7EBC0280
	v_mov_b32_e32 v158, 0                                      // 000000003934: 7F3C0280
	v_mov_b32_e32 v95, 0                                       // 000000003938: 7EBE0280
	v_mov_b32_e32 v159, 0                                      // 00000000393C: 7F3E0280
	v_mov_b32_e32 v96, 0                                       // 000000003940: 7EC00280
	v_mov_b32_e32 v160, 0                                      // 000000003944: 7F400280
	v_mov_b32_e32 v97, 0                                       // 000000003948: 7EC20280
	v_mov_b32_e32 v161, 0                                      // 00000000394C: 7F420280
	v_mov_b32_e32 v98, 0                                       // 000000003950: 7EC40280
	v_mov_b32_e32 v162, 0                                      // 000000003954: 7F440280
	v_mov_b32_e32 v99, 0                                       // 000000003958: 7EC60280
	v_mov_b32_e32 v163, 0                                      // 00000000395C: 7F460280
	v_mov_b32_e32 v100, 0                                      // 000000003960: 7EC80280
	v_mov_b32_e32 v164, 0                                      // 000000003964: 7F480280
	v_mov_b32_e32 v101, 0                                      // 000000003968: 7ECA0280
	v_mov_b32_e32 v165, 0                                      // 00000000396C: 7F4A0280
	v_mov_b32_e32 v102, 0                                      // 000000003970: 7ECC0280
	v_mov_b32_e32 v166, 0                                      // 000000003974: 7F4C0280
	v_mov_b32_e32 v103, 0                                      // 000000003978: 7ECE0280
	v_mov_b32_e32 v167, 0                                      // 00000000397C: 7F4E0280
	v_mov_b32_e32 v104, 0                                      // 000000003980: 7ED00280
	v_mov_b32_e32 v168, 0                                      // 000000003984: 7F500280
	v_mov_b32_e32 v105, 0                                      // 000000003988: 7ED20280
	v_mov_b32_e32 v169, 0                                      // 00000000398C: 7F520280
	v_mov_b32_e32 v106, 0                                      // 000000003990: 7ED40280
	v_mov_b32_e32 v170, 0                                      // 000000003994: 7F540280
	v_mov_b32_e32 v107, 0                                      // 000000003998: 7ED60280
	v_mov_b32_e32 v171, 0                                      // 00000000399C: 7F560280
	v_mov_b32_e32 v108, 0                                      // 0000000039A0: 7ED80280
	v_mov_b32_e32 v172, 0                                      // 0000000039A4: 7F580280
	v_mov_b32_e32 v109, 0                                      // 0000000039A8: 7EDA0280
	v_mov_b32_e32 v173, 0                                      // 0000000039AC: 7F5A0280
	v_mov_b32_e32 v110, 0                                      // 0000000039B0: 7EDC0280
	v_mov_b32_e32 v174, 0                                      // 0000000039B4: 7F5C0280
	v_mov_b32_e32 v111, 0                                      // 0000000039B8: 7EDE0280
	v_mov_b32_e32 v175, 0                                      // 0000000039BC: 7F5E0280
	v_mov_b32_e32 v112, 0                                      // 0000000039C0: 7EE00280
	v_mov_b32_e32 v176, 0                                      // 0000000039C4: 7F600280
	v_mov_b32_e32 v113, 0                                      // 0000000039C8: 7EE20280
	v_mov_b32_e32 v177, 0                                      // 0000000039CC: 7F620280
	v_mov_b32_e32 v114, 0                                      // 0000000039D0: 7EE40280
	v_mov_b32_e32 v178, 0                                      // 0000000039D4: 7F640280
	v_mov_b32_e32 v115, 0                                      // 0000000039D8: 7EE60280
	v_mov_b32_e32 v179, 0                                      // 0000000039DC: 7F660280
	v_mov_b32_e32 v116, 0                                      // 0000000039E0: 7EE80280
	v_mov_b32_e32 v180, 0                                      // 0000000039E4: 7F680280
	v_mov_b32_e32 v117, 0                                      // 0000000039E8: 7EEA0280
	v_mov_b32_e32 v181, 0                                      // 0000000039EC: 7F6A0280
	v_mov_b32_e32 v118, 0                                      // 0000000039F0: 7EEC0280
	v_mov_b32_e32 v182, 0                                      // 0000000039F4: 7F6C0280
	v_mov_b32_e32 v119, 0                                      // 0000000039F8: 7EEE0280
	v_mov_b32_e32 v183, 0                                      // 0000000039FC: 7F6E0280
	v_mov_b32_e32 v120, 0                                      // 000000003A00: 7EF00280
	v_mov_b32_e32 v184, 0                                      // 000000003A04: 7F700280
	v_mov_b32_e32 v121, 0                                      // 000000003A08: 7EF20280
	v_mov_b32_e32 v185, 0                                      // 000000003A0C: 7F720280
	v_mov_b32_e32 v122, 0                                      // 000000003A10: 7EF40280
	v_mov_b32_e32 v186, 0                                      // 000000003A14: 7F740280
	v_mov_b32_e32 v123, 0                                      // 000000003A18: 7EF60280
	v_mov_b32_e32 v187, 0                                      // 000000003A1C: 7F760280
	v_mov_b32_e32 v124, 0                                      // 000000003A20: 7EF80280
	v_mov_b32_e32 v188, 0                                      // 000000003A24: 7F780280
	v_mov_b32_e32 v125, 0                                      // 000000003A28: 7EFA0280
	v_mov_b32_e32 v189, 0                                      // 000000003A2C: 7F7A0280
	v_mov_b32_e32 v126, 0                                      // 000000003A30: 7EFC0280
	v_mov_b32_e32 v190, 0                                      // 000000003A34: 7F7C0280
	v_mov_b32_e32 v127, 0                                      // 000000003A38: 7EFE0280
	v_mov_b32_e32 v191, 0                                      // 000000003A3C: 7F7E0280
	v_mov_b32_e32 v128, 0                                      // 000000003A40: 7F000280
	v_mov_b32_e32 v192, 0                                      // 000000003A44: 7F800280
	v_mov_b32_e32 v129, 0                                      // 000000003A48: 7F020280
	v_mov_b32_e32 v193, 0                                      // 000000003A4C: 7F820280
	v_mov_b32_e32 v130, 0                                      // 000000003A50: 7F040280
	v_mov_b32_e32 v194, 0                                      // 000000003A54: 7F840280
	v_mov_b32_e32 v131, 0                                      // 000000003A58: 7F060280
	v_mov_b32_e32 v195, 0                                      // 000000003A5C: 7F860280
	v_mov_b32_e32 v132, 0                                      // 000000003A60: 7F080280
	v_mov_b32_e32 v196, 0                                      // 000000003A64: 7F880280
	v_mov_b32_e32 v133, 0                                      // 000000003A68: 7F0A0280
	v_mov_b32_e32 v197, 0                                      // 000000003A6C: 7F8A0280
	v_mov_b32_e32 v134, 0                                      // 000000003A70: 7F0C0280
	v_mov_b32_e32 v198, 0                                      // 000000003A74: 7F8C0280
	v_mov_b32_e32 v135, 0                                      // 000000003A78: 7F0E0280
	v_mov_b32_e32 v199, 0                                      // 000000003A7C: 7F8E0280
	v_mov_b32_e32 v136, 0                                      // 000000003A80: 7F100280
	v_mov_b32_e32 v200, 0                                      // 000000003A84: 7F900280
	v_mov_b32_e32 v137, 0                                      // 000000003A88: 7F120280
	v_mov_b32_e32 v201, 0                                      // 000000003A8C: 7F920280
	v_mov_b32_e32 v138, 0                                      // 000000003A90: 7F140280
	v_mov_b32_e32 v202, 0                                      // 000000003A94: 7F940280
	v_mov_b32_e32 v139, 0                                      // 000000003A98: 7F160280
	v_mov_b32_e32 v203, 0                                      // 000000003A9C: 7F960280
	v_mov_b32_e32 v140, 0                                      // 000000003AA0: 7F180280
	v_mov_b32_e32 v204, 0                                      // 000000003AA4: 7F980280
	v_mov_b32_e32 v141, 0                                      // 000000003AA8: 7F1A0280
	v_mov_b32_e32 v205, 0                                      // 000000003AAC: 7F9A0280
	v_mov_b32_e32 v142, 0                                      // 000000003AB0: 7F1C0280
	v_mov_b32_e32 v206, 0                                      // 000000003AB4: 7F9C0280
	v_mov_b32_e32 v143, 0                                      // 000000003AB8: 7F1E0280
	v_mov_b32_e32 v207, 0                                      // 000000003ABC: 7F9E0280
	v_mov_b32_e32 v144, 0                                      // 000000003AC0: 7F200280
	v_mov_b32_e32 v208, 0                                      // 000000003AC4: 7FA00280
	v_mov_b32_e32 v145, 0                                      // 000000003AC8: 7F220280
	v_mov_b32_e32 v209, 0                                      // 000000003ACC: 7FA20280
	v_mov_b32_e32 v146, 0                                      // 000000003AD0: 7F240280
	v_mov_b32_e32 v210, 0                                      // 000000003AD4: 7FA40280
	v_mov_b32_e32 v147, 0                                      // 000000003AD8: 7F260280
	v_mov_b32_e32 v211, 0                                      // 000000003ADC: 7FA60280
	v_mov_b32_e32 v148, 0                                      // 000000003AE0: 7F280280
	v_mov_b32_e32 v212, 0                                      // 000000003AE4: 7FA80280
	v_mov_b32_e32 v149, 0                                      // 000000003AE8: 7F2A0280
	v_mov_b32_e32 v213, 0                                      // 000000003AEC: 7FAA0280
	v_mov_b32_e32 v150, 0                                      // 000000003AF0: 7F2C0280
	v_mov_b32_e32 v214, 0                                      // 000000003AF4: 7FAC0280
	v_mov_b32_e32 v151, 0                                      // 000000003AF8: 7F2E0280
	v_mov_b32_e32 v215, 0                                      // 000000003AFC: 7FAE0280
	v_mov_b32_e32 v152, 0                                      // 000000003B00: 7F300280
	v_mov_b32_e32 v216, 0                                      // 000000003B04: 7FB00280
	v_mov_b32_e32 v153, 0                                      // 000000003B08: 7F320280
	v_mov_b32_e32 v217, 0                                      // 000000003B0C: 7FB20280
	v_mov_b32_e32 v154, 0                                      // 000000003B10: 7F340280
	v_mov_b32_e32 v218, 0                                      // 000000003B14: 7FB40280
	v_mov_b32_e32 v155, 0                                      // 000000003B18: 7F360280
	v_mov_b32_e32 v219, 0                                      // 000000003B1C: 7FB60280
	v_mov_b32_e32 v156, 0                                      // 000000003B20: 7F380280
	v_mov_b32_e32 v220, 0                                      // 000000003B24: 7FB80280
	v_mov_b32_e32 v157, 0                                      // 000000003B28: 7F3A0280
	v_mov_b32_e32 v221, 0                                      // 000000003B2C: 7FBA0280
	v_mov_b32_e32 v158, 0                                      // 000000003B30: 7F3C0280
	v_mov_b32_e32 v222, 0                                      // 000000003B34: 7FBC0280
	v_mov_b32_e32 v159, 0                                      // 000000003B38: 7F3E0280
	v_mov_b32_e32 v223, 0                                      // 000000003B3C: 7FBE0280
	v_mov_b32_e32 v160, 0                                      // 000000003B40: 7F400280
	v_mov_b32_e32 v224, 0                                      // 000000003B44: 7FC00280
	v_mov_b32_e32 v161, 0                                      // 000000003B48: 7F420280
	v_mov_b32_e32 v225, 0                                      // 000000003B4C: 7FC20280
	v_mov_b32_e32 v162, 0                                      // 000000003B50: 7F440280
	v_mov_b32_e32 v226, 0                                      // 000000003B54: 7FC40280
	v_mov_b32_e32 v163, 0                                      // 000000003B58: 7F460280
	v_mov_b32_e32 v227, 0                                      // 000000003B5C: 7FC60280
	v_mov_b32_e32 v164, 0                                      // 000000003B60: 7F480280
	v_mov_b32_e32 v228, 0                                      // 000000003B64: 7FC80280
	v_mov_b32_e32 v165, 0                                      // 000000003B68: 7F4A0280
	v_mov_b32_e32 v229, 0                                      // 000000003B6C: 7FCA0280
	v_mov_b32_e32 v166, 0                                      // 000000003B70: 7F4C0280
	v_mov_b32_e32 v230, 0                                      // 000000003B74: 7FCC0280
	v_mov_b32_e32 v167, 0                                      // 000000003B78: 7F4E0280
	v_mov_b32_e32 v231, 0                                      // 000000003B7C: 7FCE0280
	v_mov_b32_e32 v168, 0                                      // 000000003B80: 7F500280
	v_mov_b32_e32 v232, 0                                      // 000000003B84: 7FD00280
	v_mov_b32_e32 v169, 0                                      // 000000003B88: 7F520280
	v_mov_b32_e32 v233, 0                                      // 000000003B8C: 7FD20280
	v_mov_b32_e32 v170, 0                                      // 000000003B90: 7F540280
	v_mov_b32_e32 v234, 0                                      // 000000003B94: 7FD40280
	v_mov_b32_e32 v171, 0                                      // 000000003B98: 7F560280
	v_mov_b32_e32 v235, 0                                      // 000000003B9C: 7FD60280
	v_mov_b32_e32 v172, 0                                      // 000000003BA0: 7F580280
	v_mov_b32_e32 v236, 0                                      // 000000003BA4: 7FD80280
	v_mov_b32_e32 v173, 0                                      // 000000003BA8: 7F5A0280
	v_mov_b32_e32 v237, 0                                      // 000000003BAC: 7FDA0280
	v_mov_b32_e32 v174, 0                                      // 000000003BB0: 7F5C0280
	v_mov_b32_e32 v238, 0                                      // 000000003BB4: 7FDC0280
	v_mov_b32_e32 v175, 0                                      // 000000003BB8: 7F5E0280
	v_mov_b32_e32 v239, 0                                      // 000000003BBC: 7FDE0280
	v_mov_b32_e32 v176, 0                                      // 000000003BC0: 7F600280
	v_mov_b32_e32 v240, 0                                      // 000000003BC4: 7FE00280
	v_mov_b32_e32 v177, 0                                      // 000000003BC8: 7F620280
	v_mov_b32_e32 v241, 0                                      // 000000003BCC: 7FE20280
	v_mov_b32_e32 v178, 0                                      // 000000003BD0: 7F640280
	v_mov_b32_e32 v242, 0                                      // 000000003BD4: 7FE40280
	v_mov_b32_e32 v179, 0                                      // 000000003BD8: 7F660280
	v_mov_b32_e32 v243, 0                                      // 000000003BDC: 7FE60280
	v_mov_b32_e32 v180, 0                                      // 000000003BE0: 7F680280
	v_mov_b32_e32 v244, 0                                      // 000000003BE4: 7FE80280
	v_mov_b32_e32 v181, 0                                      // 000000003BE8: 7F6A0280
	v_mov_b32_e32 v245, 0                                      // 000000003BEC: 7FEA0280
	v_mov_b32_e32 v182, 0                                      // 000000003BF0: 7F6C0280
	v_mov_b32_e32 v246, 0                                      // 000000003BF4: 7FEC0280
	v_mov_b32_e32 v183, 0                                      // 000000003BF8: 7F6E0280
	v_mov_b32_e32 v247, 0                                      // 000000003BFC: 7FEE0280
	v_mov_b32_e32 v184, 0                                      // 000000003C00: 7F700280
	v_mov_b32_e32 v248, 0                                      // 000000003C04: 7FF00280
	v_mov_b32_e32 v185, 0                                      // 000000003C08: 7F720280
	v_mov_b32_e32 v249, 0                                      // 000000003C0C: 7FF20280
	v_mov_b32_e32 v186, 0                                      // 000000003C10: 7F740280
	v_mov_b32_e32 v250, 0                                      // 000000003C14: 7FF40280
	v_mov_b32_e32 v187, 0                                      // 000000003C18: 7F760280
	v_mov_b32_e32 v251, 0                                      // 000000003C1C: 7FF60280
	v_mov_b32_e32 v188, 0                                      // 000000003C20: 7F780280
	v_mov_b32_e32 v252, 0                                      // 000000003C24: 7FF80280
	v_mov_b32_e32 v189, 0                                      // 000000003C28: 7F7A0280
	v_mov_b32_e32 v253, 0                                      // 000000003C2C: 7FFA0280
	v_mov_b32_e32 v190, 0                                      // 000000003C30: 7F7C0280
	v_mov_b32_e32 v254, 0                                      // 000000003C34: 7FFC0280
	v_mov_b32_e32 v191, 0                                      // 000000003C38: 7F7E0280
	v_mov_b32_e32 v255, 0                                      // 000000003C3C: 7FFE0280
	v_lshrrev_b32_e32 v60, 4, v0                               // 000000003C40: 20780084
	v_mul_i32_i24_e32 v4, 34, v60                              // 000000003C44: 0C0878A2
	v_and_b32_e32 v60, 15, v0                                  // 000000003C48: 2678008F
	v_mul_i32_i24_e32 v61, 2, v60                              // 000000003C4C: 0C7A7882
	v_add_u32_e32 v4, v61, v4                                  // 000000003C50: 6808093D
	s_mul_i32 s56, s7, 0x88                                    // 000000003C54: 9238FF07 00000088
	v_add_u32_e32 v4, s56, v4                                  // 000000003C5C: 68080838
	v_mov_b32_e32 v5, v4                                       // 000000003C60: 7E0A0304
	v_mov_b32_e32 v60, 0                                       // 000000003C64: 7E780280
	v_mov_b32_e32 v61, 0x1100                                  // 000000003C68: 7E7A02FF 00001100
	v_add_u32_e32 v4, v4, v60                                  // 000000003C70: 68087904
	v_add_u32_e32 v5, v5, v61                                  // 000000003C74: 680A7B05
	v_lshlrev_b32_e32 v4, 2, v4                                // 000000003C78: 24080882
	v_lshlrev_b32_e32 v5, 2, v5                                // 000000003C7C: 240A0A82
	v_lshrrev_b32_e32 v60, 1, v0                               // 000000003C80: 20780081
	v_mul_i32_i24_e32 v6, 34, v60                              // 000000003C84: 0C0C78A2
	v_and_b32_e32 v61, 1, v0                                   // 000000003C88: 267A0081
	v_add_u32_e32 v6, v61, v6                                  // 000000003C8C: 680C0D3D
	s_mul_i32 s56, s7, 2                                       // 000000003C90: 92388207
	v_add_u32_e32 v6, s56, v6                                  // 000000003C94: 680C0C38
	v_mov_b32_e32 v7, v6                                       // 000000003C98: 7E0E0306
	v_mov_b32_e32 v60, 0                                       // 000000003C9C: 7E780280
	v_mov_b32_e32 v61, 0x1100                                  // 000000003CA0: 7E7A02FF 00001100
	v_add_u32_e32 v6, v6, v60                                  // 000000003CA8: 680C7906
	v_add_u32_e32 v7, v7, v61                                  // 000000003CAC: 680E7B07
	v_lshlrev_b32_e32 v6, 2, v6                                // 000000003CB0: 240C0C82
	v_lshlrev_b32_e32 v7, 2, v7                                // 000000003CB4: 240E0E82
	s_waitcnt vmcnt(16)                                        // 000000003CB8: BF8C4F70
	s_barrier                                                  // 000000003CBC: BF8A0000
	ds_read_b128 a[128:131], v2                                // 000000003CC0: DBFE0000 80000002
	ds_read_b128 a[132:135], v2 offset:64                      // 000000003CC8: DBFE0040 84000002
	ds_read_b128 a[136:139], v2 offset:128                     // 000000003CD0: DBFE0080 88000002
	ds_read_b128 a[140:143], v2 offset:192                     // 000000003CD8: DBFE00C0 8C000002
	ds_read_b128 a[144:147], v2 offset:1024                    // 000000003CE0: DBFE0400 90000002
	ds_read_b128 a[148:151], v2 offset:1088                    // 000000003CE8: DBFE0440 94000002
	ds_read_b128 a[152:155], v2 offset:1152                    // 000000003CF0: DBFE0480 98000002
	ds_read_b128 a[156:159], v2 offset:1216                    // 000000003CF8: DBFE04C0 9C000002
	ds_read_b128 a[160:163], v2 offset:2048                    // 000000003D00: DBFE0800 A0000002
	ds_read_b128 a[164:167], v2 offset:2112                    // 000000003D08: DBFE0840 A4000002
	ds_read_b128 a[168:171], v2 offset:2176                    // 000000003D10: DBFE0880 A8000002
	ds_read_b128 a[172:175], v2 offset:2240                    // 000000003D18: DBFE08C0 AC000002
	ds_read_b128 a[176:179], v2 offset:3072                    // 000000003D20: DBFE0C00 B0000002
	ds_read_b128 a[180:183], v2 offset:3136                    // 000000003D28: DBFE0C40 B4000002
	ds_read_b128 a[184:187], v2 offset:3200                    // 000000003D30: DBFE0C80 B8000002
	ds_read_b128 a[188:191], v2 offset:3264                    // 000000003D38: DBFE0CC0 BC000002
	ds_read_b32 v21, v3 offset:16512                           // 000000003D40: D86C4080 15000003
	ds_read_b32 v22, v3 offset:16768                           // 000000003D48: D86C4180 16000003
	ds_read_b32 v23, v3 offset:17536                           // 000000003D50: D86C4480 17000003
	ds_read_b32 v24, v3 offset:17792                           // 000000003D58: D86C4580 18000003
	ds_read_b32 v25, v3 offset:17024                           // 000000003D60: D86C4280 19000003
	ds_read_b32 v26, v3 offset:17280                           // 000000003D68: D86C4380 1A000003
	ds_read_b32 v27, v3 offset:18048                           // 000000003D70: D86C4680 1B000003
	ds_read_b32 v28, v3 offset:18304                           // 000000003D78: D86C4780 1C000003
	s_cmp_lt_i32 s7, 2                                         // 000000003D80: BF048207
	s_cbranch_scc0 label_1C32                                  // 000000003D84: BF841850

0000000000003d88 <label_03E2>:
	s_waitcnt vmcnt(8) lgkmcnt(0)                              // 000000003D88: BF8C0078
	s_barrier                                                  // 000000003D8C: BF8A0000
	v_mfma_f32_16x16x32_fp8_fp8 v[192:195], a[0:1], a[128:129], 0// 000000003D90: D3F300C0 1A030100
	v_mfma_f32_16x16x32_fp8_fp8 v[192:195], a[2:3], a[130:131], v[192:195]// 000000003D98: D3F300C0 1F030502
	buffer_load_dwordx4 a[64:67], v47, s[96:99], 0 offen       // 000000003DA0: E05C1000 8098402F
	v_mfma_f32_16x16x32_fp8_fp8 v[192:195], a[4:5], a[132:133], v[192:195]// 000000003DA8: D3F300C0 1F030904
	v_mfma_f32_16x16x32_fp8_fp8 v[192:195], a[6:7], a[134:135], v[192:195]// 000000003DB0: D3F300C0 1F030D06
	buffer_load_dword v43, s[20:23], 0 offen lds               // 000000003DB8: E0511000 8005002B
	s_mul_i32 s56, s80, s64                                    // 000000003DC0: 92384050
	v_lshl_add_u32 v45, v0, 2, s56                             // 000000003DC4: D1FD002D 00E10500
	s_add_u32 m0, 0x100, s49                                   // 000000003DCC: 807C31FF 00000100
	v_mfma_f32_16x16x32_fp8_fp8 v[196:199], a[0:1], a[144:145], 0// 000000003DD4: D3F300C4 1A032100
	v_mfma_f32_16x16x32_fp8_fp8 v[196:199], a[2:3], a[146:147], v[196:199]// 000000003DDC: D3F300C4 1F132502
	v_mfma_f32_16x16x32_fp8_fp8 v[196:199], a[4:5], a[148:149], v[196:199]// 000000003DE4: D3F300C4 1F132904
	v_mfma_f32_16x16x32_fp8_fp8 v[196:199], a[6:7], a[150:151], v[196:199]// 000000003DEC: D3F300C4 1F132D06
	buffer_load_dword v44, s[20:23], 0 offen lds               // 000000003DF4: E0511000 8005002C
	s_mul_i32 s56, s81, s64                                    // 000000003DFC: 92384051
	v_lshl_add_u32 v46, v0, 2, s56                             // 000000003E00: D1FD002E 00E10500
	s_add_u32 m0, 0x200, s49                                   // 000000003E08: 807C31FF 00000200
	v_mfma_f32_16x16x32_fp8_fp8 v[200:203], a[0:1], a[160:161], 0// 000000003E10: D3F300C8 1A034100
	v_mfma_f32_16x16x32_fp8_fp8 v[200:203], a[2:3], a[162:163], v[200:203]// 000000003E18: D3F300C8 1F234502
	buffer_load_dwordx4 a[68:71], v47, s[96:99], 0 offen offset:1024// 000000003E20: E05C1400 8098442F
	v_mfma_f32_16x16x32_fp8_fp8 v[200:203], a[4:5], a[164:165], v[200:203]// 000000003E28: D3F300C8 1F234904
	v_mfma_f32_16x16x32_fp8_fp8 v[200:203], a[6:7], a[166:167], v[200:203]// 000000003E30: D3F300C8 1F234D06
	buffer_load_dword v45, s[20:23], 0 offen lds               // 000000003E38: E0511000 8005002D
	s_mul_i32 s56, s82, s64                                    // 000000003E40: 92384052
	v_lshl_add_u32 v43, v0, 2, s56                             // 000000003E44: D1FD002B 00E10500
	s_add_u32 m0, 0x300, s49                                   // 000000003E4C: 807C31FF 00000300
	v_mfma_f32_16x16x32_fp8_fp8 v[204:207], a[0:1], a[176:177], 0// 000000003E54: D3F300CC 1A036100
	v_mfma_f32_16x16x32_fp8_fp8 v[204:207], a[2:3], a[178:179], v[204:207]// 000000003E5C: D3F300CC 1F336502
	v_mfma_f32_16x16x32_fp8_fp8 v[204:207], a[4:5], a[180:181], v[204:207]// 000000003E64: D3F300CC 1F336904
	v_mfma_f32_16x16x32_fp8_fp8 v[204:207], a[6:7], a[182:183], v[204:207]// 000000003E6C: D3F300CC 1F336D06
	buffer_load_dword v46, s[20:23], 0 offen lds               // 000000003E74: E0511000 8005002E
	s_mul_i32 s56, s83, s64                                    // 000000003E7C: 92384053
	v_lshl_add_u32 v44, v0, 2, s56                             // 000000003E80: D1FD002C 00E10500
	s_add_u32 m0, 0x400, s49                                   // 000000003E88: 807C31FF 00000400
	v_mfma_f32_16x16x32_fp8_fp8 v[208:211], a[16:17], a[128:129], 0// 000000003E90: D3F300D0 1A030110
	v_mfma_f32_16x16x32_fp8_fp8 v[208:211], a[18:19], a[130:131], v[208:211]// 000000003E98: D3F300D0 1F430512
	buffer_load_dwordx4 a[80:83], v48, s[96:99], 0 offen       // 000000003EA0: E05C1000 80985030
	v_mfma_f32_16x16x32_fp8_fp8 v[208:211], a[20:21], a[132:133], v[208:211]// 000000003EA8: D3F300D0 1F430914
	v_mfma_f32_16x16x32_fp8_fp8 v[208:211], a[22:23], a[134:135], v[208:211]// 000000003EB0: D3F300D0 1F430D16
	buffer_load_dword v43, s[20:23], 0 offen lds               // 000000003EB8: E0511000 8005002B
	s_mul_i32 s56, s84, s64                                    // 000000003EC0: 92384054
	v_lshl_add_u32 v45, v0, 2, s56                             // 000000003EC4: D1FD002D 00E10500
	s_add_u32 m0, 0x500, s49                                   // 000000003ECC: 807C31FF 00000500
	v_mfma_f32_16x16x32_fp8_fp8 v[212:215], a[16:17], a[144:145], 0// 000000003ED4: D3F300D4 1A032110
	v_mfma_f32_16x16x32_fp8_fp8 v[212:215], a[18:19], a[146:147], v[212:215]// 000000003EDC: D3F300D4 1F532512
	v_mfma_f32_16x16x32_fp8_fp8 v[212:215], a[20:21], a[148:149], v[212:215]// 000000003EE4: D3F300D4 1F532914
	v_mfma_f32_16x16x32_fp8_fp8 v[212:215], a[22:23], a[150:151], v[212:215]// 000000003EEC: D3F300D4 1F532D16
	buffer_load_dword v44, s[20:23], 0 offen lds               // 000000003EF4: E0511000 8005002C
	s_mul_i32 s56, s85, s64                                    // 000000003EFC: 92384055
	v_lshl_add_u32 v46, v0, 2, s56                             // 000000003F00: D1FD002E 00E10500
	s_add_u32 m0, 0x600, s49                                   // 000000003F08: 807C31FF 00000600
	v_mfma_f32_16x16x32_fp8_fp8 v[216:219], a[16:17], a[160:161], 0// 000000003F10: D3F300D8 1A034110
	v_mfma_f32_16x16x32_fp8_fp8 v[216:219], a[18:19], a[162:163], v[216:219]// 000000003F18: D3F300D8 1F634512
	buffer_load_dwordx4 a[84:87], v48, s[96:99], 0 offen offset:1024// 000000003F20: E05C1400 80985430
	v_mfma_f32_16x16x32_fp8_fp8 v[216:219], a[20:21], a[164:165], v[216:219]// 000000003F28: D3F300D8 1F634914
	v_mfma_f32_16x16x32_fp8_fp8 v[216:219], a[22:23], a[166:167], v[216:219]// 000000003F30: D3F300D8 1F634D16
	buffer_load_dword v45, s[20:23], 0 offen lds               // 000000003F38: E0511000 8005002D
	s_mul_i32 s56, s86, s64                                    // 000000003F40: 92384056
	v_lshl_add_u32 v43, v0, 2, s56                             // 000000003F44: D1FD002B 00E10500
	s_add_u32 m0, 0x700, s49                                   // 000000003F4C: 807C31FF 00000700
	v_mfma_f32_16x16x32_fp8_fp8 v[220:223], a[16:17], a[176:177], 0// 000000003F54: D3F300DC 1A036110
	v_mfma_f32_16x16x32_fp8_fp8 v[220:223], a[18:19], a[178:179], v[220:223]// 000000003F5C: D3F300DC 1F736512
	v_mfma_f32_16x16x32_fp8_fp8 v[220:223], a[20:21], a[180:181], v[220:223]// 000000003F64: D3F300DC 1F736914
	v_mfma_f32_16x16x32_fp8_fp8 v[220:223], a[22:23], a[182:183], v[220:223]// 000000003F6C: D3F300DC 1F736D16
	buffer_load_dword v46, s[20:23], 0 offen lds               // 000000003F74: E0511000 8005002E
	s_mul_i32 s56, s87, s64                                    // 000000003F7C: 92384057
	v_lshl_add_u32 v44, v0, 2, s56                             // 000000003F80: D1FD002C 00E10500
	s_add_u32 m0, 0x800, s49                                   // 000000003F88: 807C31FF 00000800
	s_waitcnt vmcnt(31)                                        // 000000003F90: BF8C4F7F
	v_mfma_f32_16x16x32_fp8_fp8 v[224:227], a[32:33], a[128:129], 0// 000000003F94: D3F300E0 1A030120
	v_mfma_f32_16x16x32_fp8_fp8 v[224:227], a[34:35], a[130:131], v[224:227]// 000000003F9C: D3F300E0 1F830522
	buffer_load_dwordx4 a[96:99], v49, s[96:99], 0 offen       // 000000003FA4: E05C1000 80986031
	v_mfma_f32_16x16x32_fp8_fp8 v[224:227], a[36:37], a[132:133], v[224:227]// 000000003FAC: D3F300E0 1F830924
	v_mfma_f32_16x16x32_fp8_fp8 v[224:227], a[38:39], a[134:135], v[224:227]// 000000003FB4: D3F300E0 1F830D26
	buffer_load_dword v43, s[20:23], 0 offen lds               // 000000003FBC: E0511000 8005002B
	s_mul_i32 s56, s88, s64                                    // 000000003FC4: 92384058
	v_lshl_add_u32 v45, v0, 2, s56                             // 000000003FC8: D1FD002D 00E10500
	s_add_u32 m0, 0x900, s49                                   // 000000003FD0: 807C31FF 00000900
	v_mfma_f32_16x16x32_fp8_fp8 v[228:231], a[32:33], a[144:145], 0// 000000003FD8: D3F300E4 1A032120
	v_mfma_f32_16x16x32_fp8_fp8 v[228:231], a[34:35], a[146:147], v[228:231]// 000000003FE0: D3F300E4 1F932522
	v_mfma_f32_16x16x32_fp8_fp8 v[228:231], a[36:37], a[148:149], v[228:231]// 000000003FE8: D3F300E4 1F932924
	v_mfma_f32_16x16x32_fp8_fp8 v[228:231], a[38:39], a[150:151], v[228:231]// 000000003FF0: D3F300E4 1F932D26
	buffer_load_dword v44, s[20:23], 0 offen lds               // 000000003FF8: E0511000 8005002C
	s_mul_i32 s56, s89, s64                                    // 000000004000: 92384059
	v_lshl_add_u32 v46, v0, 2, s56                             // 000000004004: D1FD002E 00E10500
	s_add_u32 m0, 0xa00, s49                                   // 00000000400C: 807C31FF 00000A00
	v_mfma_f32_16x16x32_fp8_fp8 v[232:235], a[32:33], a[160:161], 0// 000000004014: D3F300E8 1A034120
	v_mfma_f32_16x16x32_fp8_fp8 v[232:235], a[34:35], a[162:163], v[232:235]// 00000000401C: D3F300E8 1FA34522
	buffer_load_dwordx4 a[100:103], v49, s[96:99], 0 offen offset:1024// 000000004024: E05C1400 80986431
	v_mfma_f32_16x16x32_fp8_fp8 v[232:235], a[36:37], a[164:165], v[232:235]// 00000000402C: D3F300E8 1FA34924
	v_mfma_f32_16x16x32_fp8_fp8 v[232:235], a[38:39], a[166:167], v[232:235]// 000000004034: D3F300E8 1FA34D26
	buffer_load_dword v45, s[20:23], 0 offen lds               // 00000000403C: E0511000 8005002D
	s_mul_i32 s56, s90, s64                                    // 000000004044: 9238405A
	v_lshl_add_u32 v43, v0, 2, s56                             // 000000004048: D1FD002B 00E10500
	s_add_u32 m0, 0xb00, s49                                   // 000000004050: 807C31FF 00000B00
	v_mfma_f32_16x16x32_fp8_fp8 v[236:239], a[32:33], a[176:177], 0// 000000004058: D3F300EC 1A036120
	v_mfma_f32_16x16x32_fp8_fp8 v[236:239], a[34:35], a[178:179], v[236:239]// 000000004060: D3F300EC 1FB36522
	v_mfma_f32_16x16x32_fp8_fp8 v[236:239], a[36:37], a[180:181], v[236:239]// 000000004068: D3F300EC 1FB36924
	v_mfma_f32_16x16x32_fp8_fp8 v[236:239], a[38:39], a[182:183], v[236:239]// 000000004070: D3F300EC 1FB36D26
	buffer_load_dword v46, s[20:23], 0 offen lds               // 000000004078: E0511000 8005002E
	s_mul_i32 s56, s91, s64                                    // 000000004080: 9238405B
	v_lshl_add_u32 v44, v0, 2, s56                             // 000000004084: D1FD002C 00E10500
	s_add_u32 m0, 0xc00, s49                                   // 00000000408C: 807C31FF 00000C00
	s_waitcnt vmcnt(31)                                        // 000000004094: BF8C4F7F
	v_mfma_f32_16x16x32_fp8_fp8 v[240:243], a[48:49], a[128:129], 0// 000000004098: D3F300F0 1A030130
	v_mfma_f32_16x16x32_fp8_fp8 v[240:243], a[50:51], a[130:131], v[240:243]// 0000000040A0: D3F300F0 1FC30532
	buffer_load_dwordx4 a[112:115], v50, s[96:99], 0 offen     // 0000000040A8: E05C1000 80987032
	v_mfma_f32_16x16x32_fp8_fp8 v[240:243], a[52:53], a[132:133], v[240:243]// 0000000040B0: D3F300F0 1FC30934
	v_mfma_f32_16x16x32_fp8_fp8 v[240:243], a[54:55], a[134:135], v[240:243]// 0000000040B8: D3F300F0 1FC30D36
	buffer_load_dword v43, s[20:23], 0 offen lds               // 0000000040C0: E0511000 8005002B
	s_mul_i32 s56, s92, s64                                    // 0000000040C8: 9238405C
	v_lshl_add_u32 v45, v0, 2, s56                             // 0000000040CC: D1FD002D 00E10500
	s_add_u32 m0, 0xd00, s49                                   // 0000000040D4: 807C31FF 00000D00
	v_mfma_f32_16x16x32_fp8_fp8 v[244:247], a[48:49], a[144:145], 0// 0000000040DC: D3F300F4 1A032130
	v_mfma_f32_16x16x32_fp8_fp8 v[244:247], a[50:51], a[146:147], v[244:247]// 0000000040E4: D3F300F4 1FD32532
	v_mfma_f32_16x16x32_fp8_fp8 v[244:247], a[52:53], a[148:149], v[244:247]// 0000000040EC: D3F300F4 1FD32934
	v_mfma_f32_16x16x32_fp8_fp8 v[244:247], a[54:55], a[150:151], v[244:247]// 0000000040F4: D3F300F4 1FD32D36
	buffer_load_dword v44, s[20:23], 0 offen lds               // 0000000040FC: E0511000 8005002C
	s_mul_i32 s56, s93, s64                                    // 000000004104: 9238405D
	v_lshl_add_u32 v46, v0, 2, s56                             // 000000004108: D1FD002E 00E10500
	s_add_u32 m0, 0xe00, s49                                   // 000000004110: 807C31FF 00000E00
	v_mfma_f32_16x16x32_fp8_fp8 v[248:251], a[48:49], a[160:161], 0// 000000004118: D3F300F8 1A034130
	v_mfma_f32_16x16x32_fp8_fp8 v[248:251], a[50:51], a[162:163], v[248:251]// 000000004120: D3F300F8 1FE34532
	buffer_load_dwordx4 a[116:119], v50, s[96:99], 0 offen offset:1024// 000000004128: E05C1400 80987432
	v_mfma_f32_16x16x32_fp8_fp8 v[248:251], a[52:53], a[164:165], v[248:251]// 000000004130: D3F300F8 1FE34934
	v_mfma_f32_16x16x32_fp8_fp8 v[248:251], a[54:55], a[166:167], v[248:251]// 000000004138: D3F300F8 1FE34D36
	buffer_load_dword v45, s[20:23], 0 offen lds               // 000000004140: E0511000 8005002D
	s_mul_i32 s56, s78, s64                                    // 000000004148: 9238404E
	v_lshl_add_u32 v43, v0, 2, s56                             // 00000000414C: D1FD002B 00E10500
	s_add_u32 m0, 0xf00, s49                                   // 000000004154: 807C31FF 00000F00
	v_mfma_f32_16x16x32_fp8_fp8 v[252:255], a[48:49], a[176:177], 0// 00000000415C: D3F300FC 1A036130
	v_mfma_f32_16x16x32_fp8_fp8 v[252:255], a[50:51], a[178:179], v[252:255]// 000000004164: D3F300FC 1FF36532
	v_mfma_f32_16x16x32_fp8_fp8 v[252:255], a[52:53], a[180:181], v[252:255]// 00000000416C: D3F300FC 1FF36934
	v_mfma_f32_16x16x32_fp8_fp8 v[252:255], a[54:55], a[182:183], v[252:255]// 000000004174: D3F300FC 1FF36D36
	buffer_load_dword v46, s[20:23], 0 offen lds               // 00000000417C: E0511000 8005002E
	s_mul_i32 s56, s79, s64                                    // 000000004184: 9238404F
	v_lshl_add_u32 v44, v0, 2, s56                             // 000000004188: D1FD002C 00E10500
	s_add_u32 m0, s49, s72                                     // 000000004190: 807C4831
	buffer_load_dword v9, s[28:31], 0 offen lds                // 000000004194: E0511000 80070009
	s_add_u32 m0, m0, 0x400                                    // 00000000419C: 807CFF7C 00000400
	buffer_load_dword v11, s[28:31], 0 offen lds               // 0000000041A4: E0511000 8007000B
	s_add_u32 m0, 0, s48                                       // 0000000041AC: 807C3080
	buffer_load_dword v38, v19, s[32:35], 0 offen              // 0000000041B0: E0501000 80082613
	v_mul_f32_dpp v60, v37, v21 row_newbcast:0 row_mask:0xf bank_mask:0xf// 0000000041B8: 0A782AFA FF015025
	v_mov_b32_e32 v61, v60                                     // 0000000041C0: 7E7A033C
	v_pk_fma_f32 v[64:65], v[192:193], v[60:61], v[64:65]      // 0000000041C4: D3B04040 1D0279C0
	v_pk_fma_f32 v[66:67], v[194:195], v[60:61], v[66:67]      // 0000000041CC: D3B04042 1D0A79C2
	v_pk_fma_f32 v[80:81], v[208:209], v[60:61], v[80:81]      // 0000000041D4: D3B04050 1D4279D0
	v_pk_fma_f32 v[82:83], v[210:211], v[60:61], v[82:83]      // 0000000041DC: D3B04052 1D4A79D2
	v_mul_f32_dpp v60, v37, v21 row_newbcast:1 row_mask:0xf bank_mask:0xf// 0000000041E4: 0A782AFA FF015125
	v_mov_b32_e32 v61, v60                                     // 0000000041EC: 7E7A033C
	v_pk_fma_f32 v[96:97], v[224:225], v[60:61], v[96:97]      // 0000000041F0: D3B04060 1D8279E0
	v_pk_fma_f32 v[98:99], v[226:227], v[60:61], v[98:99]      // 0000000041F8: D3B04062 1D8A79E2
	v_pk_fma_f32 v[112:113], v[240:241], v[60:61], v[112:113]  // 000000004200: D3B04070 1DC279F0
	v_pk_fma_f32 v[114:115], v[242:243], v[60:61], v[114:115]  // 000000004208: D3B04072 1DCA79F2
	v_mul_f32_dpp v60, v37, v22 row_newbcast:0 row_mask:0xf bank_mask:0xf// 000000004210: 0A782CFA FF015025
	v_mov_b32_e32 v61, v60                                     // 000000004218: 7E7A033C
	v_pk_fma_f32 v[68:69], v[196:197], v[60:61], v[68:69]      // 00000000421C: D3B04044 1D1279C4
	v_pk_fma_f32 v[70:71], v[198:199], v[60:61], v[70:71]      // 000000004224: D3B04046 1D1A79C6
	v_pk_fma_f32 v[84:85], v[212:213], v[60:61], v[84:85]      // 00000000422C: D3B04054 1D5279D4
	v_pk_fma_f32 v[86:87], v[214:215], v[60:61], v[86:87]      // 000000004234: D3B04056 1D5A79D6
	v_mul_f32_dpp v60, v37, v22 row_newbcast:1 row_mask:0xf bank_mask:0xf// 00000000423C: 0A782CFA FF015125
	v_mov_b32_e32 v61, v60                                     // 000000004244: 7E7A033C
	v_pk_fma_f32 v[100:101], v[228:229], v[60:61], v[100:101]  // 000000004248: D3B04064 1D9279E4
	v_pk_fma_f32 v[102:103], v[230:231], v[60:61], v[102:103]  // 000000004250: D3B04066 1D9A79E6
	v_pk_fma_f32 v[116:117], v[244:245], v[60:61], v[116:117]  // 000000004258: D3B04074 1DD279F4
	v_pk_fma_f32 v[118:119], v[246:247], v[60:61], v[118:119]  // 000000004260: D3B04076 1DDA79F6
	v_mul_f32_dpp v60, v37, v23 row_newbcast:0 row_mask:0xf bank_mask:0xf// 000000004268: 0A782EFA FF015025
	v_mov_b32_e32 v61, v60                                     // 000000004270: 7E7A033C
	v_pk_fma_f32 v[72:73], v[200:201], v[60:61], v[72:73]      // 000000004274: D3B04048 1D2279C8
	v_pk_fma_f32 v[74:75], v[202:203], v[60:61], v[74:75]      // 00000000427C: D3B0404A 1D2A79CA
	v_pk_fma_f32 v[88:89], v[216:217], v[60:61], v[88:89]      // 000000004284: D3B04058 1D6279D8
	v_pk_fma_f32 v[90:91], v[218:219], v[60:61], v[90:91]      // 00000000428C: D3B0405A 1D6A79DA
	v_mul_f32_dpp v60, v37, v23 row_newbcast:1 row_mask:0xf bank_mask:0xf// 000000004294: 0A782EFA FF015125
	v_mov_b32_e32 v61, v60                                     // 00000000429C: 7E7A033C
	v_pk_fma_f32 v[104:105], v[232:233], v[60:61], v[104:105]  // 0000000042A0: D3B04068 1DA279E8
	v_pk_fma_f32 v[106:107], v[234:235], v[60:61], v[106:107]  // 0000000042A8: D3B0406A 1DAA79EA
	v_pk_fma_f32 v[120:121], v[248:249], v[60:61], v[120:121]  // 0000000042B0: D3B04078 1DE279F8
	v_pk_fma_f32 v[122:123], v[250:251], v[60:61], v[122:123]  // 0000000042B8: D3B0407A 1DEA79FA
	v_mul_f32_dpp v60, v37, v24 row_newbcast:0 row_mask:0xf bank_mask:0xf// 0000000042C0: 0A7830FA FF015025
	v_mov_b32_e32 v61, v60                                     // 0000000042C8: 7E7A033C
	v_pk_fma_f32 v[76:77], v[204:205], v[60:61], v[76:77]      // 0000000042CC: D3B0404C 1D3279CC
	v_pk_fma_f32 v[78:79], v[206:207], v[60:61], v[78:79]      // 0000000042D4: D3B0404E 1D3A79CE
	v_pk_fma_f32 v[92:93], v[220:221], v[60:61], v[92:93]      // 0000000042DC: D3B0405C 1D7279DC
	v_pk_fma_f32 v[94:95], v[222:223], v[60:61], v[94:95]      // 0000000042E4: D3B0405E 1D7A79DE
	v_mul_f32_dpp v60, v37, v24 row_newbcast:1 row_mask:0xf bank_mask:0xf// 0000000042EC: 0A7830FA FF015125
	v_mov_b32_e32 v61, v60                                     // 0000000042F4: 7E7A033C
	v_pk_fma_f32 v[108:109], v[236:237], v[60:61], v[108:109]  // 0000000042F8: D3B0406C 1DB279EC
	v_pk_fma_f32 v[110:111], v[238:239], v[60:61], v[110:111]  // 000000004300: D3B0406E 1DBA79EE
	v_pk_fma_f32 v[124:125], v[252:253], v[60:61], v[124:125]  // 000000004308: D3B0407C 1DF279FC
	v_pk_fma_f32 v[126:127], v[254:255], v[60:61], v[126:127]  // 000000004310: D3B0407E 1DFA79FE
	s_waitcnt vmcnt(31)                                        // 000000004318: BF8C4F7F
	v_mfma_f32_16x16x32_fp8_fp8 v[192:195], a[8:9], a[136:137], 0// 00000000431C: D3F300C0 1A031108
	v_mfma_f32_16x16x32_fp8_fp8 v[192:195], a[10:11], a[138:139], v[192:195]// 000000004324: D3F300C0 1F03150A
	buffer_load_dwordx4 a[72:75], v47, s[96:99], 0 offen offset:2048// 00000000432C: E05C1800 8098482F
	v_mfma_f32_16x16x32_fp8_fp8 v[192:195], a[12:13], a[140:141], v[192:195]// 000000004334: D3F300C0 1F03190C
	v_mfma_f32_16x16x32_fp8_fp8 v[192:195], a[14:15], a[142:143], v[192:195]// 00000000433C: D3F300C0 1F031D0E
	v_mfma_f32_16x16x32_fp8_fp8 v[196:199], a[8:9], a[152:153], 0// 000000004344: D3F300C4 1A033108
	v_mfma_f32_16x16x32_fp8_fp8 v[196:199], a[10:11], a[154:155], v[196:199]// 00000000434C: D3F300C4 1F13350A
	v_mfma_f32_16x16x32_fp8_fp8 v[196:199], a[12:13], a[156:157], v[196:199]// 000000004354: D3F300C4 1F13390C
	v_mfma_f32_16x16x32_fp8_fp8 v[196:199], a[14:15], a[158:159], v[196:199]// 00000000435C: D3F300C4 1F133D0E
	v_mfma_f32_16x16x32_fp8_fp8 v[200:203], a[8:9], a[168:169], 0// 000000004364: D3F300C8 1A035108
	v_mfma_f32_16x16x32_fp8_fp8 v[200:203], a[10:11], a[170:171], v[200:203]// 00000000436C: D3F300C8 1F23550A
	buffer_load_dwordx4 a[76:79], v47, s[96:99], 0 offen offset:3072// 000000004374: E05C1C00 80984C2F
	v_mfma_f32_16x16x32_fp8_fp8 v[200:203], a[12:13], a[172:173], v[200:203]// 00000000437C: D3F300C8 1F23590C
	v_mfma_f32_16x16x32_fp8_fp8 v[200:203], a[14:15], a[174:175], v[200:203]// 000000004384: D3F300C8 1F235D0E
	v_mfma_f32_16x16x32_fp8_fp8 v[204:207], a[8:9], a[184:185], 0// 00000000438C: D3F300CC 1A037108
	v_mfma_f32_16x16x32_fp8_fp8 v[204:207], a[10:11], a[186:187], v[204:207]// 000000004394: D3F300CC 1F33750A
	v_mfma_f32_16x16x32_fp8_fp8 v[204:207], a[12:13], a[188:189], v[204:207]// 00000000439C: D3F300CC 1F33790C
	v_mfma_f32_16x16x32_fp8_fp8 v[204:207], a[14:15], a[190:191], v[204:207]// 0000000043A4: D3F300CC 1F337D0E
	s_waitcnt vmcnt(31)                                        // 0000000043AC: BF8C4F7F
	v_mfma_f32_16x16x32_fp8_fp8 v[208:211], a[24:25], a[136:137], 0// 0000000043B0: D3F300D0 1A031118
	v_mfma_f32_16x16x32_fp8_fp8 v[208:211], a[26:27], a[138:139], v[208:211]// 0000000043B8: D3F300D0 1F43151A
	buffer_load_dwordx4 a[88:91], v48, s[96:99], 0 offen offset:2048// 0000000043C0: E05C1800 80985830
	v_mfma_f32_16x16x32_fp8_fp8 v[208:211], a[28:29], a[140:141], v[208:211]// 0000000043C8: D3F300D0 1F43191C
	v_mfma_f32_16x16x32_fp8_fp8 v[208:211], a[30:31], a[142:143], v[208:211]// 0000000043D0: D3F300D0 1F431D1E
	v_mfma_f32_16x16x32_fp8_fp8 v[212:215], a[24:25], a[152:153], 0// 0000000043D8: D3F300D4 1A033118
	v_mfma_f32_16x16x32_fp8_fp8 v[212:215], a[26:27], a[154:155], v[212:215]// 0000000043E0: D3F300D4 1F53351A
	v_mfma_f32_16x16x32_fp8_fp8 v[212:215], a[28:29], a[156:157], v[212:215]// 0000000043E8: D3F300D4 1F53391C
	v_mfma_f32_16x16x32_fp8_fp8 v[212:215], a[30:31], a[158:159], v[212:215]// 0000000043F0: D3F300D4 1F533D1E
	v_mfma_f32_16x16x32_fp8_fp8 v[216:219], a[24:25], a[168:169], 0// 0000000043F8: D3F300D8 1A035118
	v_mfma_f32_16x16x32_fp8_fp8 v[216:219], a[26:27], a[170:171], v[216:219]// 000000004400: D3F300D8 1F63551A
	buffer_load_dwordx4 a[92:95], v48, s[96:99], 0 offen offset:3072// 000000004408: E05C1C00 80985C30
	v_mfma_f32_16x16x32_fp8_fp8 v[216:219], a[28:29], a[172:173], v[216:219]// 000000004410: D3F300D8 1F63591C
	v_mfma_f32_16x16x32_fp8_fp8 v[216:219], a[30:31], a[174:175], v[216:219]// 000000004418: D3F300D8 1F635D1E
	v_mfma_f32_16x16x32_fp8_fp8 v[220:223], a[24:25], a[184:185], 0// 000000004420: D3F300DC 1A037118
	v_mfma_f32_16x16x32_fp8_fp8 v[220:223], a[26:27], a[186:187], v[220:223]// 000000004428: D3F300DC 1F73751A
	v_mfma_f32_16x16x32_fp8_fp8 v[220:223], a[28:29], a[188:189], v[220:223]// 000000004430: D3F300DC 1F73791C
	v_mfma_f32_16x16x32_fp8_fp8 v[220:223], a[30:31], a[190:191], v[220:223]// 000000004438: D3F300DC 1F737D1E
	s_waitcnt vmcnt(31)                                        // 000000004440: BF8C4F7F
	v_mfma_f32_16x16x32_fp8_fp8 v[224:227], a[40:41], a[136:137], 0// 000000004444: D3F300E0 1A031128
	v_mfma_f32_16x16x32_fp8_fp8 v[224:227], a[42:43], a[138:139], v[224:227]// 00000000444C: D3F300E0 1F83152A
	buffer_load_dwordx4 a[104:107], v49, s[96:99], 0 offen offset:2048// 000000004454: E05C1800 80986831
	v_mfma_f32_16x16x32_fp8_fp8 v[224:227], a[44:45], a[140:141], v[224:227]// 00000000445C: D3F300E0 1F83192C
	v_mfma_f32_16x16x32_fp8_fp8 v[224:227], a[46:47], a[142:143], v[224:227]// 000000004464: D3F300E0 1F831D2E
	v_mfma_f32_16x16x32_fp8_fp8 v[228:231], a[40:41], a[152:153], 0// 00000000446C: D3F300E4 1A033128
	v_mfma_f32_16x16x32_fp8_fp8 v[228:231], a[42:43], a[154:155], v[228:231]// 000000004474: D3F300E4 1F93352A
	v_mfma_f32_16x16x32_fp8_fp8 v[228:231], a[44:45], a[156:157], v[228:231]// 00000000447C: D3F300E4 1F93392C
	v_mfma_f32_16x16x32_fp8_fp8 v[228:231], a[46:47], a[158:159], v[228:231]// 000000004484: D3F300E4 1F933D2E
	v_mfma_f32_16x16x32_fp8_fp8 v[232:235], a[40:41], a[168:169], 0// 00000000448C: D3F300E8 1A035128
	v_mfma_f32_16x16x32_fp8_fp8 v[232:235], a[42:43], a[170:171], v[232:235]// 000000004494: D3F300E8 1FA3552A
	buffer_load_dwordx4 a[108:111], v49, s[96:99], 0 offen offset:3072// 00000000449C: E05C1C00 80986C31
	v_mfma_f32_16x16x32_fp8_fp8 v[232:235], a[44:45], a[172:173], v[232:235]// 0000000044A4: D3F300E8 1FA3592C
	v_mfma_f32_16x16x32_fp8_fp8 v[232:235], a[46:47], a[174:175], v[232:235]// 0000000044AC: D3F300E8 1FA35D2E
	v_mfma_f32_16x16x32_fp8_fp8 v[236:239], a[40:41], a[184:185], 0// 0000000044B4: D3F300EC 1A037128
	v_mfma_f32_16x16x32_fp8_fp8 v[236:239], a[42:43], a[186:187], v[236:239]// 0000000044BC: D3F300EC 1FB3752A
	v_mfma_f32_16x16x32_fp8_fp8 v[236:239], a[44:45], a[188:189], v[236:239]// 0000000044C4: D3F300EC 1FB3792C
	v_mfma_f32_16x16x32_fp8_fp8 v[236:239], a[46:47], a[190:191], v[236:239]// 0000000044CC: D3F300EC 1FB37D2E
	s_waitcnt vmcnt(31)                                        // 0000000044D4: BF8C4F7F
	v_mfma_f32_16x16x32_fp8_fp8 v[240:243], a[56:57], a[136:137], 0// 0000000044D8: D3F300F0 1A031138
	v_mfma_f32_16x16x32_fp8_fp8 v[240:243], a[58:59], a[138:139], v[240:243]// 0000000044E0: D3F300F0 1FC3153A
	buffer_load_dwordx4 a[120:123], v50, s[96:99], 0 offen offset:2048// 0000000044E8: E05C1800 80987832
	v_mfma_f32_16x16x32_fp8_fp8 v[240:243], a[60:61], a[140:141], v[240:243]// 0000000044F0: D3F300F0 1FC3193C
	v_mfma_f32_16x16x32_fp8_fp8 v[240:243], a[62:63], a[142:143], v[240:243]// 0000000044F8: D3F300F0 1FC31D3E
	v_mfma_f32_16x16x32_fp8_fp8 v[244:247], a[56:57], a[152:153], 0// 000000004500: D3F300F4 1A033138
	v_mfma_f32_16x16x32_fp8_fp8 v[244:247], a[58:59], a[154:155], v[244:247]// 000000004508: D3F300F4 1FD3353A
	v_mfma_f32_16x16x32_fp8_fp8 v[244:247], a[60:61], a[156:157], v[244:247]// 000000004510: D3F300F4 1FD3393C
	v_mfma_f32_16x16x32_fp8_fp8 v[244:247], a[62:63], a[158:159], v[244:247]// 000000004518: D3F300F4 1FD33D3E
	v_mfma_f32_16x16x32_fp8_fp8 v[248:251], a[56:57], a[168:169], 0// 000000004520: D3F300F8 1A035138
	v_mfma_f32_16x16x32_fp8_fp8 v[248:251], a[58:59], a[170:171], v[248:251]// 000000004528: D3F300F8 1FE3553A
	buffer_load_dwordx4 a[124:127], v50, s[96:99], 0 offen offset:3072// 000000004530: E05C1C00 80987C32
	v_mfma_f32_16x16x32_fp8_fp8 v[248:251], a[60:61], a[172:173], v[248:251]// 000000004538: D3F300F8 1FE3593C
	v_mfma_f32_16x16x32_fp8_fp8 v[248:251], a[62:63], a[174:175], v[248:251]// 000000004540: D3F300F8 1FE35D3E
	v_mfma_f32_16x16x32_fp8_fp8 v[252:255], a[56:57], a[184:185], 0// 000000004548: D3F300FC 1A037138
	v_mfma_f32_16x16x32_fp8_fp8 v[252:255], a[58:59], a[186:187], v[252:255]// 000000004550: D3F300FC 1FF3753A
	v_mfma_f32_16x16x32_fp8_fp8 v[252:255], a[60:61], a[188:189], v[252:255]// 000000004558: D3F300FC 1FF3793C
	v_mfma_f32_16x16x32_fp8_fp8 v[252:255], a[62:63], a[190:191], v[252:255]// 000000004560: D3F300FC 1FF37D3E
	v_mul_f32_dpp v60, v37, v25 row_newbcast:2 row_mask:0xf bank_mask:0xf// 000000004568: 0A7832FA FF015225
	v_mov_b32_e32 v61, v60                                     // 000000004570: 7E7A033C
	v_pk_fma_f32 v[64:65], v[192:193], v[60:61], v[64:65]      // 000000004574: D3B04040 1D0279C0
	v_pk_fma_f32 v[66:67], v[194:195], v[60:61], v[66:67]      // 00000000457C: D3B04042 1D0A79C2
	v_pk_fma_f32 v[80:81], v[208:209], v[60:61], v[80:81]      // 000000004584: D3B04050 1D4279D0
	v_pk_fma_f32 v[82:83], v[210:211], v[60:61], v[82:83]      // 00000000458C: D3B04052 1D4A79D2
	v_mul_f32_dpp v60, v37, v25 row_newbcast:3 row_mask:0xf bank_mask:0xf// 000000004594: 0A7832FA FF015325
	v_mov_b32_e32 v61, v60                                     // 00000000459C: 7E7A033C
	v_pk_fma_f32 v[96:97], v[224:225], v[60:61], v[96:97]      // 0000000045A0: D3B04060 1D8279E0
	v_pk_fma_f32 v[98:99], v[226:227], v[60:61], v[98:99]      // 0000000045A8: D3B04062 1D8A79E2
	v_pk_fma_f32 v[112:113], v[240:241], v[60:61], v[112:113]  // 0000000045B0: D3B04070 1DC279F0
	v_pk_fma_f32 v[114:115], v[242:243], v[60:61], v[114:115]  // 0000000045B8: D3B04072 1DCA79F2
	v_mul_f32_dpp v60, v37, v26 row_newbcast:2 row_mask:0xf bank_mask:0xf// 0000000045C0: 0A7834FA FF015225
	v_mov_b32_e32 v61, v60                                     // 0000000045C8: 7E7A033C
	v_pk_fma_f32 v[68:69], v[196:197], v[60:61], v[68:69]      // 0000000045CC: D3B04044 1D1279C4
	v_pk_fma_f32 v[70:71], v[198:199], v[60:61], v[70:71]      // 0000000045D4: D3B04046 1D1A79C6
	v_pk_fma_f32 v[84:85], v[212:213], v[60:61], v[84:85]      // 0000000045DC: D3B04054 1D5279D4
	v_pk_fma_f32 v[86:87], v[214:215], v[60:61], v[86:87]      // 0000000045E4: D3B04056 1D5A79D6
	v_mul_f32_dpp v60, v37, v26 row_newbcast:3 row_mask:0xf bank_mask:0xf// 0000000045EC: 0A7834FA FF015325
	v_mov_b32_e32 v61, v60                                     // 0000000045F4: 7E7A033C
	v_pk_fma_f32 v[100:101], v[228:229], v[60:61], v[100:101]  // 0000000045F8: D3B04064 1D9279E4
	v_pk_fma_f32 v[102:103], v[230:231], v[60:61], v[102:103]  // 000000004600: D3B04066 1D9A79E6
	v_pk_fma_f32 v[116:117], v[244:245], v[60:61], v[116:117]  // 000000004608: D3B04074 1DD279F4
	v_pk_fma_f32 v[118:119], v[246:247], v[60:61], v[118:119]  // 000000004610: D3B04076 1DDA79F6
	v_mul_f32_dpp v60, v37, v27 row_newbcast:2 row_mask:0xf bank_mask:0xf// 000000004618: 0A7836FA FF015225
	v_mov_b32_e32 v61, v60                                     // 000000004620: 7E7A033C
	v_pk_fma_f32 v[72:73], v[200:201], v[60:61], v[72:73]      // 000000004624: D3B04048 1D2279C8
	v_pk_fma_f32 v[74:75], v[202:203], v[60:61], v[74:75]      // 00000000462C: D3B0404A 1D2A79CA
	v_pk_fma_f32 v[88:89], v[216:217], v[60:61], v[88:89]      // 000000004634: D3B04058 1D6279D8
	v_pk_fma_f32 v[90:91], v[218:219], v[60:61], v[90:91]      // 00000000463C: D3B0405A 1D6A79DA
	v_mul_f32_dpp v60, v37, v27 row_newbcast:3 row_mask:0xf bank_mask:0xf// 000000004644: 0A7836FA FF015325
	v_mov_b32_e32 v61, v60                                     // 00000000464C: 7E7A033C
	v_pk_fma_f32 v[104:105], v[232:233], v[60:61], v[104:105]  // 000000004650: D3B04068 1DA279E8
	v_pk_fma_f32 v[106:107], v[234:235], v[60:61], v[106:107]  // 000000004658: D3B0406A 1DAA79EA
	v_pk_fma_f32 v[120:121], v[248:249], v[60:61], v[120:121]  // 000000004660: D3B04078 1DE279F8
	v_pk_fma_f32 v[122:123], v[250:251], v[60:61], v[122:123]  // 000000004668: D3B0407A 1DEA79FA
	v_mul_f32_dpp v60, v37, v28 row_newbcast:2 row_mask:0xf bank_mask:0xf// 000000004670: 0A7838FA FF015225
	v_mov_b32_e32 v61, v60                                     // 000000004678: 7E7A033C
	v_pk_fma_f32 v[76:77], v[204:205], v[60:61], v[76:77]      // 00000000467C: D3B0404C 1D3279CC
	v_pk_fma_f32 v[78:79], v[206:207], v[60:61], v[78:79]      // 000000004684: D3B0404E 1D3A79CE
	v_pk_fma_f32 v[92:93], v[220:221], v[60:61], v[92:93]      // 00000000468C: D3B0405C 1D7279DC
	v_pk_fma_f32 v[94:95], v[222:223], v[60:61], v[94:95]      // 000000004694: D3B0405E 1D7A79DE
	v_mul_f32_dpp v60, v37, v28 row_newbcast:3 row_mask:0xf bank_mask:0xf// 00000000469C: 0A7838FA FF015325
	v_mov_b32_e32 v61, v60                                     // 0000000046A4: 7E7A033C
	v_pk_fma_f32 v[108:109], v[236:237], v[60:61], v[108:109]  // 0000000046A8: D3B0406C 1DB279EC
	v_pk_fma_f32 v[110:111], v[238:239], v[60:61], v[110:111]  // 0000000046B0: D3B0406E 1DBA79EE
	v_pk_fma_f32 v[124:125], v[252:253], v[60:61], v[124:125]  // 0000000046B8: D3B0407C 1DF279FC
	v_pk_fma_f32 v[126:127], v[254:255], v[60:61], v[126:127]  // 0000000046C0: D3B0407E 1DFA79FE
	s_add_u32 s56, 0x100, s76                                  // 0000000046C8: 80384CFF 00000100
	s_cmp_lt_u32 s56, s77                                      // 0000000046D0: BF0A4D38
	s_cselect_b32 s4, s4, 0                                    // 0000000046D4: 85048004
	s_add_u32 s32, s4, s32                                     // 0000000046D8: 80202004
	s_addc_u32 s33, 0, s33                                     // 0000000046DC: 82212180
	s_waitcnt vmcnt(8)                                         // 0000000046E0: BF8C0F78
	s_barrier                                                  // 0000000046E4: BF8A0000
	v_mfma_f32_16x16x32_fp8_fp8 v[192:195], a[64:65], a[128:129], 0// 0000000046E8: D3F300C0 1A030140
	v_mfma_f32_16x16x32_fp8_fp8 v[192:195], a[66:67], a[130:131], v[192:195]// 0000000046F0: D3F300C0 1F030542
	buffer_load_dwordx4 a[0:3], v47, s[24:27], 0 offen         // 0000000046F8: E05C1000 8086002F
	v_mfma_f32_16x16x32_fp8_fp8 v[192:195], a[68:69], a[132:133], v[192:195]// 000000004700: D3F300C0 1F030944
	v_mfma_f32_16x16x32_fp8_fp8 v[192:195], a[70:71], a[134:135], v[192:195]// 000000004708: D3F300C0 1F030D46
	buffer_load_dword v37, v17, s[32:35], 0 offen              // 000000004710: E0501000 80082511
	v_mfma_f32_16x16x32_fp8_fp8 v[196:199], a[64:65], a[144:145], 0// 000000004718: D3F300C4 1A032140
	v_mfma_f32_16x16x32_fp8_fp8 v[196:199], a[66:67], a[146:147], v[196:199]// 000000004720: D3F300C4 1F132542
	v_mfma_f32_16x16x32_fp8_fp8 v[196:199], a[68:69], a[148:149], v[196:199]// 000000004728: D3F300C4 1F132944
	v_mfma_f32_16x16x32_fp8_fp8 v[196:199], a[70:71], a[150:151], v[196:199]// 000000004730: D3F300C4 1F132D46
	v_mfma_f32_16x16x32_fp8_fp8 v[200:203], a[64:65], a[160:161], 0// 000000004738: D3F300C8 1A034140
	v_mfma_f32_16x16x32_fp8_fp8 v[200:203], a[66:67], a[162:163], v[200:203]// 000000004740: D3F300C8 1F234542
	buffer_load_dwordx4 a[4:7], v47, s[24:27], 0 offen offset:1024// 000000004748: E05C1400 8086042F
	v_mfma_f32_16x16x32_fp8_fp8 v[200:203], a[68:69], a[164:165], v[200:203]// 000000004750: D3F300C8 1F234944
	v_mfma_f32_16x16x32_fp8_fp8 v[200:203], a[70:71], a[166:167], v[200:203]// 000000004758: D3F300C8 1F234D46
	v_mfma_f32_16x16x32_fp8_fp8 v[204:207], a[64:65], a[176:177], 0// 000000004760: D3F300CC 1A036140
	v_mfma_f32_16x16x32_fp8_fp8 v[204:207], a[66:67], a[178:179], v[204:207]// 000000004768: D3F300CC 1F336542
	v_mfma_f32_16x16x32_fp8_fp8 v[204:207], a[68:69], a[180:181], v[204:207]// 000000004770: D3F300CC 1F336944
	v_mfma_f32_16x16x32_fp8_fp8 v[204:207], a[70:71], a[182:183], v[204:207]// 000000004778: D3F300CC 1F336D46
	v_mfma_f32_16x16x32_fp8_fp8 v[208:211], a[80:81], a[128:129], 0// 000000004780: D3F300D0 1A030150
	v_mfma_f32_16x16x32_fp8_fp8 v[208:211], a[82:83], a[130:131], v[208:211]// 000000004788: D3F300D0 1F430552
	buffer_load_dwordx4 a[16:19], v48, s[24:27], 0 offen       // 000000004790: E05C1000 80861030
	v_mfma_f32_16x16x32_fp8_fp8 v[208:211], a[84:85], a[132:133], v[208:211]// 000000004798: D3F300D0 1F430954
	v_mfma_f32_16x16x32_fp8_fp8 v[208:211], a[86:87], a[134:135], v[208:211]// 0000000047A0: D3F300D0 1F430D56
	v_mfma_f32_16x16x32_fp8_fp8 v[212:215], a[80:81], a[144:145], 0// 0000000047A8: D3F300D4 1A032150
	v_mfma_f32_16x16x32_fp8_fp8 v[212:215], a[82:83], a[146:147], v[212:215]// 0000000047B0: D3F300D4 1F532552
	v_mfma_f32_16x16x32_fp8_fp8 v[212:215], a[84:85], a[148:149], v[212:215]// 0000000047B8: D3F300D4 1F532954
	v_mfma_f32_16x16x32_fp8_fp8 v[212:215], a[86:87], a[150:151], v[212:215]// 0000000047C0: D3F300D4 1F532D56
	v_mfma_f32_16x16x32_fp8_fp8 v[216:219], a[80:81], a[160:161], 0// 0000000047C8: D3F300D8 1A034150
	v_mfma_f32_16x16x32_fp8_fp8 v[216:219], a[82:83], a[162:163], v[216:219]// 0000000047D0: D3F300D8 1F634552
	buffer_load_dwordx4 a[20:23], v48, s[24:27], 0 offen offset:1024// 0000000047D8: E05C1400 80861430
	v_mfma_f32_16x16x32_fp8_fp8 v[216:219], a[84:85], a[164:165], v[216:219]// 0000000047E0: D3F300D8 1F634954
	v_mfma_f32_16x16x32_fp8_fp8 v[216:219], a[86:87], a[166:167], v[216:219]// 0000000047E8: D3F300D8 1F634D56
	v_mfma_f32_16x16x32_fp8_fp8 v[220:223], a[80:81], a[176:177], 0// 0000000047F0: D3F300DC 1A036150
	v_mfma_f32_16x16x32_fp8_fp8 v[220:223], a[82:83], a[178:179], v[220:223]// 0000000047F8: D3F300DC 1F736552
	v_mfma_f32_16x16x32_fp8_fp8 v[220:223], a[84:85], a[180:181], v[220:223]// 000000004800: D3F300DC 1F736954
	v_mfma_f32_16x16x32_fp8_fp8 v[220:223], a[86:87], a[182:183], v[220:223]// 000000004808: D3F300DC 1F736D56
	s_waitcnt vmcnt(13)                                        // 000000004810: BF8C0F7D
	v_mfma_f32_16x16x32_fp8_fp8 v[224:227], a[96:97], a[128:129], 0// 000000004814: D3F300E0 1A030160
	v_mfma_f32_16x16x32_fp8_fp8 v[224:227], a[98:99], a[130:131], v[224:227]// 00000000481C: D3F300E0 1F830562
	buffer_load_dwordx4 a[32:35], v49, s[24:27], 0 offen       // 000000004824: E05C1000 80862031
	v_mfma_f32_16x16x32_fp8_fp8 v[224:227], a[100:101], a[132:133], v[224:227]// 00000000482C: D3F300E0 1F830964
	v_mfma_f32_16x16x32_fp8_fp8 v[224:227], a[102:103], a[134:135], v[224:227]// 000000004834: D3F300E0 1F830D66
	ds_read_b128 a[192:195], v2 offset:18560                   // 00000000483C: DBFE4880 C0000002
	ds_read_b128 a[196:199], v2 offset:18624                   // 000000004844: DBFE48C0 C4000002
	ds_read_b32 v29, v3 offset:35072                           // 00000000484C: D86C8900 1D000003
	ds_read_b32 v30, v3 offset:35328                           // 000000004854: D86C8A00 1E000003
	v_mfma_f32_16x16x32_fp8_fp8 v[228:231], a[96:97], a[144:145], 0// 00000000485C: D3F300E4 1A032160
	v_mfma_f32_16x16x32_fp8_fp8 v[228:231], a[98:99], a[146:147], v[228:231]// 000000004864: D3F300E4 1F932562
	v_mfma_f32_16x16x32_fp8_fp8 v[228:231], a[100:101], a[148:149], v[228:231]// 00000000486C: D3F300E4 1F932964
	v_mfma_f32_16x16x32_fp8_fp8 v[228:231], a[102:103], a[150:151], v[228:231]// 000000004874: D3F300E4 1F932D66
	ds_read_b128 a[200:203], v2 offset:18688                   // 00000000487C: DBFE4900 C8000002
	ds_read_b128 a[204:207], v2 offset:18752                   // 000000004884: DBFE4940 CC000002
	ds_read_b32 v31, v3 offset:36096                           // 00000000488C: D86C8D00 1F000003
	ds_read_b32 v32, v3 offset:36352                           // 000000004894: D86C8E00 20000003
	v_mfma_f32_16x16x32_fp8_fp8 v[232:235], a[96:97], a[160:161], 0// 00000000489C: D3F300E8 1A034160
	v_mfma_f32_16x16x32_fp8_fp8 v[232:235], a[98:99], a[162:163], v[232:235]// 0000000048A4: D3F300E8 1FA34562
	buffer_load_dwordx4 a[36:39], v49, s[24:27], 0 offen offset:1024// 0000000048AC: E05C1400 80862431
	v_mfma_f32_16x16x32_fp8_fp8 v[232:235], a[100:101], a[164:165], v[232:235]// 0000000048B4: D3F300E8 1FA34964
	v_mfma_f32_16x16x32_fp8_fp8 v[232:235], a[102:103], a[166:167], v[232:235]// 0000000048BC: D3F300E8 1FA34D66
	ds_read_b128 a[208:211], v2 offset:19584                   // 0000000048C4: DBFE4C80 D0000002
	ds_read_b128 a[212:215], v2 offset:19648                   // 0000000048CC: DBFE4CC0 D4000002
	ds_read_b32 v33, v3 offset:35584                           // 0000000048D4: D86C8B00 21000003
	ds_read_b32 v34, v3 offset:35840                           // 0000000048DC: D86C8C00 22000003
	v_mfma_f32_16x16x32_fp8_fp8 v[236:239], a[96:97], a[176:177], 0// 0000000048E4: D3F300EC 1A036160
	v_mfma_f32_16x16x32_fp8_fp8 v[236:239], a[98:99], a[178:179], v[236:239]// 0000000048EC: D3F300EC 1FB36562
	v_mfma_f32_16x16x32_fp8_fp8 v[236:239], a[100:101], a[180:181], v[236:239]// 0000000048F4: D3F300EC 1FB36964
	v_mfma_f32_16x16x32_fp8_fp8 v[236:239], a[102:103], a[182:183], v[236:239]// 0000000048FC: D3F300EC 1FB36D66
	ds_read_b128 a[216:219], v2 offset:19712                   // 000000004904: DBFE4D00 D8000002
	ds_read_b128 a[220:223], v2 offset:19776                   // 00000000490C: DBFE4D40 DC000002
	ds_read_b32 v35, v3 offset:36608                           // 000000004914: D86C8F00 23000003
	ds_read_b32 v36, v3 offset:36864                           // 00000000491C: D86C9000 24000003
	s_waitcnt vmcnt(13)                                        // 000000004924: BF8C0F7D
	v_mfma_f32_16x16x32_fp8_fp8 v[240:243], a[112:113], a[128:129], 0// 000000004928: D3F300F0 1A030170
	v_mfma_f32_16x16x32_fp8_fp8 v[240:243], a[114:115], a[130:131], v[240:243]// 000000004930: D3F300F0 1FC30572
	buffer_load_dwordx4 a[48:51], v50, s[24:27], 0 offen       // 000000004938: E05C1000 80863032
	v_mfma_f32_16x16x32_fp8_fp8 v[240:243], a[116:117], a[132:133], v[240:243]// 000000004940: D3F300F0 1FC30974
	v_mfma_f32_16x16x32_fp8_fp8 v[240:243], a[118:119], a[134:135], v[240:243]// 000000004948: D3F300F0 1FC30D76
	ds_read_b128 a[224:227], v2 offset:20608                   // 000000004950: DBFE5080 E0000002
	ds_read_b128 a[228:231], v2 offset:20672                   // 000000004958: DBFE50C0 E4000002
	v_mfma_f32_16x16x32_fp8_fp8 v[244:247], a[112:113], a[144:145], 0// 000000004960: D3F300F4 1A032170
	v_mfma_f32_16x16x32_fp8_fp8 v[244:247], a[114:115], a[146:147], v[244:247]// 000000004968: D3F300F4 1FD32572
	v_mfma_f32_16x16x32_fp8_fp8 v[244:247], a[116:117], a[148:149], v[244:247]// 000000004970: D3F300F4 1FD32974
	v_mfma_f32_16x16x32_fp8_fp8 v[244:247], a[118:119], a[150:151], v[244:247]// 000000004978: D3F300F4 1FD32D76
	ds_read_b128 a[232:235], v2 offset:20736                   // 000000004980: DBFE5100 E8000002
	ds_read_b128 a[236:239], v2 offset:20800                   // 000000004988: DBFE5140 EC000002
	v_mfma_f32_16x16x32_fp8_fp8 v[248:251], a[112:113], a[160:161], 0// 000000004990: D3F300F8 1A034170
	v_mfma_f32_16x16x32_fp8_fp8 v[248:251], a[114:115], a[162:163], v[248:251]// 000000004998: D3F300F8 1FE34572
	buffer_load_dwordx4 a[52:55], v50, s[24:27], 0 offen offset:1024// 0000000049A0: E05C1400 80863432
	v_mfma_f32_16x16x32_fp8_fp8 v[248:251], a[116:117], a[164:165], v[248:251]// 0000000049A8: D3F300F8 1FE34974
	v_mfma_f32_16x16x32_fp8_fp8 v[248:251], a[118:119], a[166:167], v[248:251]// 0000000049B0: D3F300F8 1FE34D76
	ds_read_b128 a[240:243], v2 offset:21632                   // 0000000049B8: DBFE5480 F0000002
	ds_read_b128 a[244:247], v2 offset:21696                   // 0000000049C0: DBFE54C0 F4000002
	v_mfma_f32_16x16x32_fp8_fp8 v[252:255], a[112:113], a[176:177], 0// 0000000049C8: D3F300FC 1A036170
	v_mfma_f32_16x16x32_fp8_fp8 v[252:255], a[114:115], a[178:179], v[252:255]// 0000000049D0: D3F300FC 1FF36572
	v_mfma_f32_16x16x32_fp8_fp8 v[252:255], a[116:117], a[180:181], v[252:255]// 0000000049D8: D3F300FC 1FF36974
	v_mfma_f32_16x16x32_fp8_fp8 v[252:255], a[118:119], a[182:183], v[252:255]// 0000000049E0: D3F300FC 1FF36D76
	ds_read_b128 a[248:251], v2 offset:21760                   // 0000000049E8: DBFE5500 F8000002
	ds_read_b128 a[252:255], v2 offset:21824                   // 0000000049F0: DBFE5540 FC000002
	v_mul_f32_dpp v60, v38, v21 row_newbcast:0 row_mask:0xf bank_mask:0xf// 0000000049F8: 0A782AFA FF015026
	v_mov_b32_e32 v61, v60                                     // 000000004A00: 7E7A033C
	v_pk_fma_f32 v[128:129], v[192:193], v[60:61], v[128:129]  // 000000004A04: D3B04080 1E0279C0
	v_pk_fma_f32 v[130:131], v[194:195], v[60:61], v[130:131]  // 000000004A0C: D3B04082 1E0A79C2
	v_pk_fma_f32 v[144:145], v[208:209], v[60:61], v[144:145]  // 000000004A14: D3B04090 1E4279D0
	v_pk_fma_f32 v[146:147], v[210:211], v[60:61], v[146:147]  // 000000004A1C: D3B04092 1E4A79D2
	v_mul_f32_dpp v60, v38, v21 row_newbcast:1 row_mask:0xf bank_mask:0xf// 000000004A24: 0A782AFA FF015126
	v_mov_b32_e32 v61, v60                                     // 000000004A2C: 7E7A033C
	v_pk_fma_f32 v[160:161], v[224:225], v[60:61], v[160:161]  // 000000004A30: D3B040A0 1E8279E0
	v_pk_fma_f32 v[162:163], v[226:227], v[60:61], v[162:163]  // 000000004A38: D3B040A2 1E8A79E2
	v_pk_fma_f32 v[176:177], v[240:241], v[60:61], v[176:177]  // 000000004A40: D3B040B0 1EC279F0
	v_pk_fma_f32 v[178:179], v[242:243], v[60:61], v[178:179]  // 000000004A48: D3B040B2 1ECA79F2
	v_mul_f32_dpp v60, v38, v22 row_newbcast:0 row_mask:0xf bank_mask:0xf// 000000004A50: 0A782CFA FF015026
	v_mov_b32_e32 v61, v60                                     // 000000004A58: 7E7A033C
	v_pk_fma_f32 v[132:133], v[196:197], v[60:61], v[132:133]  // 000000004A5C: D3B04084 1E1279C4
	v_pk_fma_f32 v[134:135], v[198:199], v[60:61], v[134:135]  // 000000004A64: D3B04086 1E1A79C6
	v_pk_fma_f32 v[148:149], v[212:213], v[60:61], v[148:149]  // 000000004A6C: D3B04094 1E5279D4
	v_pk_fma_f32 v[150:151], v[214:215], v[60:61], v[150:151]  // 000000004A74: D3B04096 1E5A79D6
	v_mul_f32_dpp v60, v38, v22 row_newbcast:1 row_mask:0xf bank_mask:0xf// 000000004A7C: 0A782CFA FF015126
	v_mov_b32_e32 v61, v60                                     // 000000004A84: 7E7A033C
	v_pk_fma_f32 v[164:165], v[228:229], v[60:61], v[164:165]  // 000000004A88: D3B040A4 1E9279E4
	v_pk_fma_f32 v[166:167], v[230:231], v[60:61], v[166:167]  // 000000004A90: D3B040A6 1E9A79E6
	v_pk_fma_f32 v[180:181], v[244:245], v[60:61], v[180:181]  // 000000004A98: D3B040B4 1ED279F4
	v_pk_fma_f32 v[182:183], v[246:247], v[60:61], v[182:183]  // 000000004AA0: D3B040B6 1EDA79F6
	v_mul_f32_dpp v60, v38, v23 row_newbcast:0 row_mask:0xf bank_mask:0xf// 000000004AA8: 0A782EFA FF015026
	v_mov_b32_e32 v61, v60                                     // 000000004AB0: 7E7A033C
	v_pk_fma_f32 v[136:137], v[200:201], v[60:61], v[136:137]  // 000000004AB4: D3B04088 1E2279C8
	v_pk_fma_f32 v[138:139], v[202:203], v[60:61], v[138:139]  // 000000004ABC: D3B0408A 1E2A79CA
	v_pk_fma_f32 v[152:153], v[216:217], v[60:61], v[152:153]  // 000000004AC4: D3B04098 1E6279D8
	v_pk_fma_f32 v[154:155], v[218:219], v[60:61], v[154:155]  // 000000004ACC: D3B0409A 1E6A79DA
	v_mul_f32_dpp v60, v38, v23 row_newbcast:1 row_mask:0xf bank_mask:0xf// 000000004AD4: 0A782EFA FF015126
	v_mov_b32_e32 v61, v60                                     // 000000004ADC: 7E7A033C
	v_pk_fma_f32 v[168:169], v[232:233], v[60:61], v[168:169]  // 000000004AE0: D3B040A8 1EA279E8
	v_pk_fma_f32 v[170:171], v[234:235], v[60:61], v[170:171]  // 000000004AE8: D3B040AA 1EAA79EA
	v_pk_fma_f32 v[184:185], v[248:249], v[60:61], v[184:185]  // 000000004AF0: D3B040B8 1EE279F8
	v_pk_fma_f32 v[186:187], v[250:251], v[60:61], v[186:187]  // 000000004AF8: D3B040BA 1EEA79FA
	v_mul_f32_dpp v60, v38, v24 row_newbcast:0 row_mask:0xf bank_mask:0xf// 000000004B00: 0A7830FA FF015026
	v_mov_b32_e32 v61, v60                                     // 000000004B08: 7E7A033C
	v_pk_fma_f32 v[140:141], v[204:205], v[60:61], v[140:141]  // 000000004B0C: D3B0408C 1E3279CC
	v_pk_fma_f32 v[142:143], v[206:207], v[60:61], v[142:143]  // 000000004B14: D3B0408E 1E3A79CE
	v_pk_fma_f32 v[156:157], v[220:221], v[60:61], v[156:157]  // 000000004B1C: D3B0409C 1E7279DC
	v_pk_fma_f32 v[158:159], v[222:223], v[60:61], v[158:159]  // 000000004B24: D3B0409E 1E7A79DE
	v_mul_f32_dpp v60, v38, v24 row_newbcast:1 row_mask:0xf bank_mask:0xf// 000000004B2C: 0A7830FA FF015126
	v_mov_b32_e32 v61, v60                                     // 000000004B34: 7E7A033C
	v_pk_fma_f32 v[172:173], v[236:237], v[60:61], v[172:173]  // 000000004B38: D3B040AC 1EB279EC
	v_pk_fma_f32 v[174:175], v[238:239], v[60:61], v[174:175]  // 000000004B40: D3B040AE 1EBA79EE
	v_pk_fma_f32 v[188:189], v[252:253], v[60:61], v[188:189]  // 000000004B48: D3B040BC 1EF279FC
	v_pk_fma_f32 v[190:191], v[254:255], v[60:61], v[190:191]  // 000000004B50: D3B040BE 1EFA79FE
	s_waitcnt vmcnt(13)                                        // 000000004B58: BF8C0F7D
	v_mfma_f32_16x16x32_fp8_fp8 v[192:195], a[72:73], a[136:137], 0// 000000004B5C: D3F300C0 1A031148
	v_mfma_f32_16x16x32_fp8_fp8 v[192:195], a[74:75], a[138:139], v[192:195]// 000000004B64: D3F300C0 1F03154A
	buffer_load_dwordx4 a[8:11], v47, s[24:27], 0 offen offset:2048// 000000004B6C: E05C1800 8086082F
	v_mfma_f32_16x16x32_fp8_fp8 v[192:195], a[76:77], a[140:141], v[192:195]// 000000004B74: D3F300C0 1F03194C
	v_mfma_f32_16x16x32_fp8_fp8 v[192:195], a[78:79], a[142:143], v[192:195]// 000000004B7C: D3F300C0 1F031D4E
	v_mfma_f32_16x16x32_fp8_fp8 v[196:199], a[72:73], a[152:153], 0// 000000004B84: D3F300C4 1A033148
	v_mfma_f32_16x16x32_fp8_fp8 v[196:199], a[74:75], a[154:155], v[196:199]// 000000004B8C: D3F300C4 1F13354A
	v_mfma_f32_16x16x32_fp8_fp8 v[196:199], a[76:77], a[156:157], v[196:199]// 000000004B94: D3F300C4 1F13394C
	v_mfma_f32_16x16x32_fp8_fp8 v[196:199], a[78:79], a[158:159], v[196:199]// 000000004B9C: D3F300C4 1F133D4E
	v_mfma_f32_16x16x32_fp8_fp8 v[200:203], a[72:73], a[168:169], 0// 000000004BA4: D3F300C8 1A035148
	v_mfma_f32_16x16x32_fp8_fp8 v[200:203], a[74:75], a[170:171], v[200:203]// 000000004BAC: D3F300C8 1F23554A
	buffer_load_dwordx4 a[12:15], v47, s[24:27], 0 offen offset:3072// 000000004BB4: E05C1C00 80860C2F
	v_mfma_f32_16x16x32_fp8_fp8 v[200:203], a[76:77], a[172:173], v[200:203]// 000000004BBC: D3F300C8 1F23594C
	v_mfma_f32_16x16x32_fp8_fp8 v[200:203], a[78:79], a[174:175], v[200:203]// 000000004BC4: D3F300C8 1F235D4E
	v_mfma_f32_16x16x32_fp8_fp8 v[204:207], a[72:73], a[184:185], 0// 000000004BCC: D3F300CC 1A037148
	v_mfma_f32_16x16x32_fp8_fp8 v[204:207], a[74:75], a[186:187], v[204:207]// 000000004BD4: D3F300CC 1F33754A
	v_mfma_f32_16x16x32_fp8_fp8 v[204:207], a[76:77], a[188:189], v[204:207]// 000000004BDC: D3F300CC 1F33794C
	v_mfma_f32_16x16x32_fp8_fp8 v[204:207], a[78:79], a[190:191], v[204:207]// 000000004BE4: D3F300CC 1F337D4E
	s_waitcnt vmcnt(13)                                        // 000000004BEC: BF8C0F7D
	v_mfma_f32_16x16x32_fp8_fp8 v[208:211], a[88:89], a[136:137], 0// 000000004BF0: D3F300D0 1A031158
	v_mfma_f32_16x16x32_fp8_fp8 v[208:211], a[90:91], a[138:139], v[208:211]// 000000004BF8: D3F300D0 1F43155A
	buffer_load_dwordx4 a[24:27], v48, s[24:27], 0 offen offset:2048// 000000004C00: E05C1800 80861830
	v_mfma_f32_16x16x32_fp8_fp8 v[208:211], a[92:93], a[140:141], v[208:211]// 000000004C08: D3F300D0 1F43195C
	v_mfma_f32_16x16x32_fp8_fp8 v[208:211], a[94:95], a[142:143], v[208:211]// 000000004C10: D3F300D0 1F431D5E
	v_mfma_f32_16x16x32_fp8_fp8 v[212:215], a[88:89], a[152:153], 0// 000000004C18: D3F300D4 1A033158
	v_mfma_f32_16x16x32_fp8_fp8 v[212:215], a[90:91], a[154:155], v[212:215]// 000000004C20: D3F300D4 1F53355A
	v_mfma_f32_16x16x32_fp8_fp8 v[212:215], a[92:93], a[156:157], v[212:215]// 000000004C28: D3F300D4 1F53395C
	v_mfma_f32_16x16x32_fp8_fp8 v[212:215], a[94:95], a[158:159], v[212:215]// 000000004C30: D3F300D4 1F533D5E
	v_mfma_f32_16x16x32_fp8_fp8 v[216:219], a[88:89], a[168:169], 0// 000000004C38: D3F300D8 1A035158
	v_mfma_f32_16x16x32_fp8_fp8 v[216:219], a[90:91], a[170:171], v[216:219]// 000000004C40: D3F300D8 1F63555A
	buffer_load_dwordx4 a[28:31], v48, s[24:27], 0 offen offset:3072// 000000004C48: E05C1C00 80861C30
	v_mfma_f32_16x16x32_fp8_fp8 v[216:219], a[92:93], a[172:173], v[216:219]// 000000004C50: D3F300D8 1F63595C
	v_mfma_f32_16x16x32_fp8_fp8 v[216:219], a[94:95], a[174:175], v[216:219]// 000000004C58: D3F300D8 1F635D5E
	v_mfma_f32_16x16x32_fp8_fp8 v[220:223], a[88:89], a[184:185], 0// 000000004C60: D3F300DC 1A037158
	v_mfma_f32_16x16x32_fp8_fp8 v[220:223], a[90:91], a[186:187], v[220:223]// 000000004C68: D3F300DC 1F73755A
	v_mfma_f32_16x16x32_fp8_fp8 v[220:223], a[92:93], a[188:189], v[220:223]// 000000004C70: D3F300DC 1F73795C
	v_mfma_f32_16x16x32_fp8_fp8 v[220:223], a[94:95], a[190:191], v[220:223]// 000000004C78: D3F300DC 1F737D5E
	s_waitcnt vmcnt(13)                                        // 000000004C80: BF8C0F7D
	v_mfma_f32_16x16x32_fp8_fp8 v[224:227], a[104:105], a[136:137], 0// 000000004C84: D3F300E0 1A031168
	v_mfma_f32_16x16x32_fp8_fp8 v[224:227], a[106:107], a[138:139], v[224:227]// 000000004C8C: D3F300E0 1F83156A
	buffer_load_dwordx4 a[40:43], v49, s[24:27], 0 offen offset:2048// 000000004C94: E05C1800 80862831
	v_mfma_f32_16x16x32_fp8_fp8 v[224:227], a[108:109], a[140:141], v[224:227]// 000000004C9C: D3F300E0 1F83196C
	v_mfma_f32_16x16x32_fp8_fp8 v[224:227], a[110:111], a[142:143], v[224:227]// 000000004CA4: D3F300E0 1F831D6E
	v_mfma_f32_16x16x32_fp8_fp8 v[228:231], a[104:105], a[152:153], 0// 000000004CAC: D3F300E4 1A033168
	v_mfma_f32_16x16x32_fp8_fp8 v[228:231], a[106:107], a[154:155], v[228:231]// 000000004CB4: D3F300E4 1F93356A
	v_mfma_f32_16x16x32_fp8_fp8 v[228:231], a[108:109], a[156:157], v[228:231]// 000000004CBC: D3F300E4 1F93396C
	v_mfma_f32_16x16x32_fp8_fp8 v[228:231], a[110:111], a[158:159], v[228:231]// 000000004CC4: D3F300E4 1F933D6E
	v_mfma_f32_16x16x32_fp8_fp8 v[232:235], a[104:105], a[168:169], 0// 000000004CCC: D3F300E8 1A035168
	v_mfma_f32_16x16x32_fp8_fp8 v[232:235], a[106:107], a[170:171], v[232:235]// 000000004CD4: D3F300E8 1FA3556A
	buffer_load_dwordx4 a[44:47], v49, s[24:27], 0 offen offset:3072// 000000004CDC: E05C1C00 80862C31
	v_mfma_f32_16x16x32_fp8_fp8 v[232:235], a[108:109], a[172:173], v[232:235]// 000000004CE4: D3F300E8 1FA3596C
	v_mfma_f32_16x16x32_fp8_fp8 v[232:235], a[110:111], a[174:175], v[232:235]// 000000004CEC: D3F300E8 1FA35D6E
	v_mfma_f32_16x16x32_fp8_fp8 v[236:239], a[104:105], a[184:185], 0// 000000004CF4: D3F300EC 1A037168
	v_mfma_f32_16x16x32_fp8_fp8 v[236:239], a[106:107], a[186:187], v[236:239]// 000000004CFC: D3F300EC 1FB3756A
	v_mfma_f32_16x16x32_fp8_fp8 v[236:239], a[108:109], a[188:189], v[236:239]// 000000004D04: D3F300EC 1FB3796C
	v_mfma_f32_16x16x32_fp8_fp8 v[236:239], a[110:111], a[190:191], v[236:239]// 000000004D0C: D3F300EC 1FB37D6E
	s_waitcnt vmcnt(13)                                        // 000000004D14: BF8C0F7D
	v_mfma_f32_16x16x32_fp8_fp8 v[240:243], a[120:121], a[136:137], 0// 000000004D18: D3F300F0 1A031178
	v_mfma_f32_16x16x32_fp8_fp8 v[240:243], a[122:123], a[138:139], v[240:243]// 000000004D20: D3F300F0 1FC3157A
	buffer_load_dwordx4 a[56:59], v50, s[24:27], 0 offen offset:2048// 000000004D28: E05C1800 80863832
	v_mfma_f32_16x16x32_fp8_fp8 v[240:243], a[124:125], a[140:141], v[240:243]// 000000004D30: D3F300F0 1FC3197C
	v_mfma_f32_16x16x32_fp8_fp8 v[240:243], a[126:127], a[142:143], v[240:243]// 000000004D38: D3F300F0 1FC31D7E
	v_mfma_f32_16x16x32_fp8_fp8 v[244:247], a[120:121], a[152:153], 0// 000000004D40: D3F300F4 1A033178
	v_mfma_f32_16x16x32_fp8_fp8 v[244:247], a[122:123], a[154:155], v[244:247]// 000000004D48: D3F300F4 1FD3357A
	v_mfma_f32_16x16x32_fp8_fp8 v[244:247], a[124:125], a[156:157], v[244:247]// 000000004D50: D3F300F4 1FD3397C
	v_mfma_f32_16x16x32_fp8_fp8 v[244:247], a[126:127], a[158:159], v[244:247]// 000000004D58: D3F300F4 1FD33D7E
	v_mfma_f32_16x16x32_fp8_fp8 v[248:251], a[120:121], a[168:169], 0// 000000004D60: D3F300F8 1A035178
	v_mfma_f32_16x16x32_fp8_fp8 v[248:251], a[122:123], a[170:171], v[248:251]// 000000004D68: D3F300F8 1FE3557A
	buffer_load_dwordx4 a[60:63], v50, s[24:27], 0 offen offset:3072// 000000004D70: E05C1C00 80863C32
	v_mfma_f32_16x16x32_fp8_fp8 v[248:251], a[124:125], a[172:173], v[248:251]// 000000004D78: D3F300F8 1FE3597C
	v_mfma_f32_16x16x32_fp8_fp8 v[248:251], a[126:127], a[174:175], v[248:251]// 000000004D80: D3F300F8 1FE35D7E
	v_mfma_f32_16x16x32_fp8_fp8 v[252:255], a[120:121], a[184:185], 0// 000000004D88: D3F300FC 1A037178
	v_mfma_f32_16x16x32_fp8_fp8 v[252:255], a[122:123], a[186:187], v[252:255]// 000000004D90: D3F300FC 1FF3757A
	v_mfma_f32_16x16x32_fp8_fp8 v[252:255], a[124:125], a[188:189], v[252:255]// 000000004D98: D3F300FC 1FF3797C
	v_mfma_f32_16x16x32_fp8_fp8 v[252:255], a[126:127], a[190:191], v[252:255]// 000000004DA0: D3F300FC 1FF37D7E
	v_mul_f32_dpp v60, v38, v25 row_newbcast:2 row_mask:0xf bank_mask:0xf// 000000004DA8: 0A7832FA FF015226
	v_mov_b32_e32 v61, v60                                     // 000000004DB0: 7E7A033C
	v_pk_fma_f32 v[128:129], v[192:193], v[60:61], v[128:129]  // 000000004DB4: D3B04080 1E0279C0
	v_pk_fma_f32 v[130:131], v[194:195], v[60:61], v[130:131]  // 000000004DBC: D3B04082 1E0A79C2
	v_pk_fma_f32 v[144:145], v[208:209], v[60:61], v[144:145]  // 000000004DC4: D3B04090 1E4279D0
	v_pk_fma_f32 v[146:147], v[210:211], v[60:61], v[146:147]  // 000000004DCC: D3B04092 1E4A79D2
	v_mul_f32_dpp v60, v38, v25 row_newbcast:3 row_mask:0xf bank_mask:0xf// 000000004DD4: 0A7832FA FF015326
	v_mov_b32_e32 v61, v60                                     // 000000004DDC: 7E7A033C
	v_pk_fma_f32 v[160:161], v[224:225], v[60:61], v[160:161]  // 000000004DE0: D3B040A0 1E8279E0
	v_pk_fma_f32 v[162:163], v[226:227], v[60:61], v[162:163]  // 000000004DE8: D3B040A2 1E8A79E2
	v_pk_fma_f32 v[176:177], v[240:241], v[60:61], v[176:177]  // 000000004DF0: D3B040B0 1EC279F0
	v_pk_fma_f32 v[178:179], v[242:243], v[60:61], v[178:179]  // 000000004DF8: D3B040B2 1ECA79F2
	v_mul_f32_dpp v60, v38, v26 row_newbcast:2 row_mask:0xf bank_mask:0xf// 000000004E00: 0A7834FA FF015226
	v_mov_b32_e32 v61, v60                                     // 000000004E08: 7E7A033C
	v_pk_fma_f32 v[132:133], v[196:197], v[60:61], v[132:133]  // 000000004E0C: D3B04084 1E1279C4
	v_pk_fma_f32 v[134:135], v[198:199], v[60:61], v[134:135]  // 000000004E14: D3B04086 1E1A79C6
	v_pk_fma_f32 v[148:149], v[212:213], v[60:61], v[148:149]  // 000000004E1C: D3B04094 1E5279D4
	v_pk_fma_f32 v[150:151], v[214:215], v[60:61], v[150:151]  // 000000004E24: D3B04096 1E5A79D6
	v_mul_f32_dpp v60, v38, v26 row_newbcast:3 row_mask:0xf bank_mask:0xf// 000000004E2C: 0A7834FA FF015326
	v_mov_b32_e32 v61, v60                                     // 000000004E34: 7E7A033C
	v_pk_fma_f32 v[164:165], v[228:229], v[60:61], v[164:165]  // 000000004E38: D3B040A4 1E9279E4
	v_pk_fma_f32 v[166:167], v[230:231], v[60:61], v[166:167]  // 000000004E40: D3B040A6 1E9A79E6
	v_pk_fma_f32 v[180:181], v[244:245], v[60:61], v[180:181]  // 000000004E48: D3B040B4 1ED279F4
	v_pk_fma_f32 v[182:183], v[246:247], v[60:61], v[182:183]  // 000000004E50: D3B040B6 1EDA79F6
	v_mul_f32_dpp v60, v38, v27 row_newbcast:2 row_mask:0xf bank_mask:0xf// 000000004E58: 0A7836FA FF015226
	v_mov_b32_e32 v61, v60                                     // 000000004E60: 7E7A033C
	v_pk_fma_f32 v[136:137], v[200:201], v[60:61], v[136:137]  // 000000004E64: D3B04088 1E2279C8
	v_pk_fma_f32 v[138:139], v[202:203], v[60:61], v[138:139]  // 000000004E6C: D3B0408A 1E2A79CA
	v_pk_fma_f32 v[152:153], v[216:217], v[60:61], v[152:153]  // 000000004E74: D3B04098 1E6279D8
	v_pk_fma_f32 v[154:155], v[218:219], v[60:61], v[154:155]  // 000000004E7C: D3B0409A 1E6A79DA
	v_mul_f32_dpp v60, v38, v27 row_newbcast:3 row_mask:0xf bank_mask:0xf// 000000004E84: 0A7836FA FF015326
	v_mov_b32_e32 v61, v60                                     // 000000004E8C: 7E7A033C
	v_pk_fma_f32 v[168:169], v[232:233], v[60:61], v[168:169]  // 000000004E90: D3B040A8 1EA279E8
	v_pk_fma_f32 v[170:171], v[234:235], v[60:61], v[170:171]  // 000000004E98: D3B040AA 1EAA79EA
	v_pk_fma_f32 v[184:185], v[248:249], v[60:61], v[184:185]  // 000000004EA0: D3B040B8 1EE279F8
	v_pk_fma_f32 v[186:187], v[250:251], v[60:61], v[186:187]  // 000000004EA8: D3B040BA 1EEA79FA
	v_mul_f32_dpp v60, v38, v28 row_newbcast:2 row_mask:0xf bank_mask:0xf// 000000004EB0: 0A7838FA FF015226
	v_mov_b32_e32 v61, v60                                     // 000000004EB8: 7E7A033C
	v_pk_fma_f32 v[140:141], v[204:205], v[60:61], v[140:141]  // 000000004EBC: D3B0408C 1E3279CC
	v_pk_fma_f32 v[142:143], v[206:207], v[60:61], v[142:143]  // 000000004EC4: D3B0408E 1E3A79CE
	v_pk_fma_f32 v[156:157], v[220:221], v[60:61], v[156:157]  // 000000004ECC: D3B0409C 1E7279DC
	v_pk_fma_f32 v[158:159], v[222:223], v[60:61], v[158:159]  // 000000004ED4: D3B0409E 1E7A79DE
	v_mul_f32_dpp v60, v38, v28 row_newbcast:3 row_mask:0xf bank_mask:0xf// 000000004EDC: 0A7838FA FF015326
	v_mov_b32_e32 v61, v60                                     // 000000004EE4: 7E7A033C
	v_pk_fma_f32 v[172:173], v[236:237], v[60:61], v[172:173]  // 000000004EE8: D3B040AC 1EB279EC
	v_pk_fma_f32 v[174:175], v[238:239], v[60:61], v[174:175]  // 000000004EF0: D3B040AE 1EBA79EE
	v_pk_fma_f32 v[188:189], v[252:253], v[60:61], v[188:189]  // 000000004EF8: D3B040BC 1EF279FC
	v_pk_fma_f32 v[190:191], v[254:255], v[60:61], v[190:191]  // 000000004F00: D3B040BE 1EFA79FE
	s_add_u32 s56, 0x200, s76                                  // 000000004F08: 80384CFF 00000200
	s_cmp_lt_u32 s56, s77                                      // 000000004F10: BF0A4D38
	s_cselect_b32 s53, s53, 0                                  // 000000004F14: 85358035
	s_cselect_b32 s3, s3, 0                                    // 000000004F18: 85038003
	s_add_u32 s56, 0x200, s76                                  // 000000004F1C: 80384CFF 00000200
	s_cmp_lt_u32 s56, s77                                      // 000000004F24: BF0A4D38
	s_cselect_b32 s54, s54, 0                                  // 000000004F28: 85368036
	s_add_u32 s20, s53, s20                                    // 000000004F2C: 80141435
	s_addc_u32 s21, 0, s21                                     // 000000004F30: 82151580
	s_add_u32 s28, s3, s28                                     // 000000004F34: 801C1C03
	s_addc_u32 s29, 0, s29                                     // 000000004F38: 821D1D80
	s_add_u32 s24, s54, s24                                    // 000000004F3C: 80181836
	s_addc_u32 s25, 0, s25                                     // 000000004F40: 82191980
	s_add_u32 s96, s94, s96                                    // 000000004F44: 8060605E
	s_addc_u32 s97, 0, s97                                     // 000000004F48: 82616180
	s_addk_i32 s76, 0x100                                      // 000000004F4C: B74C0100
	s_cmp_lt_i32 s76, s77                                      // 000000004F50: BF044D4C
	s_cbranch_scc0 label_0CCB                                  // 000000004F54: BF840475
	s_waitcnt vmcnt(8) lgkmcnt(0)                              // 000000004F58: BF8C0078
	s_barrier                                                  // 000000004F5C: BF8A0000
	v_mfma_f32_16x16x32_fp8_fp8 v[192:195], a[0:1], a[192:193], 0// 000000004F60: D3F300C0 1A038100
	v_mfma_f32_16x16x32_fp8_fp8 v[192:195], a[2:3], a[194:195], v[192:195]// 000000004F68: D3F300C0 1F038502
	buffer_load_dwordx4 a[64:67], v47, s[96:99], 0 offen       // 000000004F70: E05C1000 8098402F
	v_mfma_f32_16x16x32_fp8_fp8 v[192:195], a[4:5], a[196:197], v[192:195]// 000000004F78: D3F300C0 1F038904
	v_mfma_f32_16x16x32_fp8_fp8 v[192:195], a[6:7], a[198:199], v[192:195]// 000000004F80: D3F300C0 1F038D06
	buffer_load_dword v43, s[20:23], 0 offen lds               // 000000004F88: E0511000 8005002B
	s_mul_i32 s56, s80, s64                                    // 000000004F90: 92384050
	v_lshl_add_u32 v45, v0, 2, s56                             // 000000004F94: D1FD002D 00E10500
	s_add_u32 m0, 0x100, s48                                   // 000000004F9C: 807C30FF 00000100
	v_mfma_f32_16x16x32_fp8_fp8 v[196:199], a[0:1], a[208:209], 0// 000000004FA4: D3F300C4 1A03A100
	v_mfma_f32_16x16x32_fp8_fp8 v[196:199], a[2:3], a[210:211], v[196:199]// 000000004FAC: D3F300C4 1F13A502
	v_mfma_f32_16x16x32_fp8_fp8 v[196:199], a[4:5], a[212:213], v[196:199]// 000000004FB4: D3F300C4 1F13A904
	v_mfma_f32_16x16x32_fp8_fp8 v[196:199], a[6:7], a[214:215], v[196:199]// 000000004FBC: D3F300C4 1F13AD06
	buffer_load_dword v44, s[20:23], 0 offen lds               // 000000004FC4: E0511000 8005002C
	s_mul_i32 s56, s81, s64                                    // 000000004FCC: 92384051
	v_lshl_add_u32 v46, v0, 2, s56                             // 000000004FD0: D1FD002E 00E10500
	s_add_u32 m0, 0x200, s48                                   // 000000004FD8: 807C30FF 00000200
	v_mfma_f32_16x16x32_fp8_fp8 v[200:203], a[0:1], a[224:225], 0// 000000004FE0: D3F300C8 1A03C100
	v_mfma_f32_16x16x32_fp8_fp8 v[200:203], a[2:3], a[226:227], v[200:203]// 000000004FE8: D3F300C8 1F23C502
	buffer_load_dwordx4 a[68:71], v47, s[96:99], 0 offen offset:1024// 000000004FF0: E05C1400 8098442F
	v_mfma_f32_16x16x32_fp8_fp8 v[200:203], a[4:5], a[228:229], v[200:203]// 000000004FF8: D3F300C8 1F23C904
	v_mfma_f32_16x16x32_fp8_fp8 v[200:203], a[6:7], a[230:231], v[200:203]// 000000005000: D3F300C8 1F23CD06
	buffer_load_dword v45, s[20:23], 0 offen lds               // 000000005008: E0511000 8005002D
	s_mul_i32 s56, s82, s64                                    // 000000005010: 92384052
	v_lshl_add_u32 v43, v0, 2, s56                             // 000000005014: D1FD002B 00E10500
	s_add_u32 m0, 0x300, s48                                   // 00000000501C: 807C30FF 00000300
	v_mfma_f32_16x16x32_fp8_fp8 v[204:207], a[0:1], a[240:241], 0// 000000005024: D3F300CC 1A03E100
	v_mfma_f32_16x16x32_fp8_fp8 v[204:207], a[2:3], a[242:243], v[204:207]// 00000000502C: D3F300CC 1F33E502
	v_mfma_f32_16x16x32_fp8_fp8 v[204:207], a[4:5], a[244:245], v[204:207]// 000000005034: D3F300CC 1F33E904
	v_mfma_f32_16x16x32_fp8_fp8 v[204:207], a[6:7], a[246:247], v[204:207]// 00000000503C: D3F300CC 1F33ED06
	buffer_load_dword v46, s[20:23], 0 offen lds               // 000000005044: E0511000 8005002E
	s_mul_i32 s56, s83, s64                                    // 00000000504C: 92384053
	v_lshl_add_u32 v44, v0, 2, s56                             // 000000005050: D1FD002C 00E10500
	s_add_u32 m0, 0x400, s48                                   // 000000005058: 807C30FF 00000400
	v_mfma_f32_16x16x32_fp8_fp8 v[208:211], a[16:17], a[192:193], 0// 000000005060: D3F300D0 1A038110
	v_mfma_f32_16x16x32_fp8_fp8 v[208:211], a[18:19], a[194:195], v[208:211]// 000000005068: D3F300D0 1F438512
	buffer_load_dwordx4 a[80:83], v48, s[96:99], 0 offen       // 000000005070: E05C1000 80985030
	v_mfma_f32_16x16x32_fp8_fp8 v[208:211], a[20:21], a[196:197], v[208:211]// 000000005078: D3F300D0 1F438914
	v_mfma_f32_16x16x32_fp8_fp8 v[208:211], a[22:23], a[198:199], v[208:211]// 000000005080: D3F300D0 1F438D16
	buffer_load_dword v43, s[20:23], 0 offen lds               // 000000005088: E0511000 8005002B
	s_mul_i32 s56, s84, s64                                    // 000000005090: 92384054
	v_lshl_add_u32 v45, v0, 2, s56                             // 000000005094: D1FD002D 00E10500
	s_add_u32 m0, 0x500, s48                                   // 00000000509C: 807C30FF 00000500
	v_mfma_f32_16x16x32_fp8_fp8 v[212:215], a[16:17], a[208:209], 0// 0000000050A4: D3F300D4 1A03A110
	v_mfma_f32_16x16x32_fp8_fp8 v[212:215], a[18:19], a[210:211], v[212:215]// 0000000050AC: D3F300D4 1F53A512
	v_mfma_f32_16x16x32_fp8_fp8 v[212:215], a[20:21], a[212:213], v[212:215]// 0000000050B4: D3F300D4 1F53A914
	v_mfma_f32_16x16x32_fp8_fp8 v[212:215], a[22:23], a[214:215], v[212:215]// 0000000050BC: D3F300D4 1F53AD16
	buffer_load_dword v44, s[20:23], 0 offen lds               // 0000000050C4: E0511000 8005002C
	s_mul_i32 s56, s85, s64                                    // 0000000050CC: 92384055
	v_lshl_add_u32 v46, v0, 2, s56                             // 0000000050D0: D1FD002E 00E10500
	s_add_u32 m0, 0x600, s48                                   // 0000000050D8: 807C30FF 00000600
	v_mfma_f32_16x16x32_fp8_fp8 v[216:219], a[16:17], a[224:225], 0// 0000000050E0: D3F300D8 1A03C110
	v_mfma_f32_16x16x32_fp8_fp8 v[216:219], a[18:19], a[226:227], v[216:219]// 0000000050E8: D3F300D8 1F63C512
	buffer_load_dwordx4 a[84:87], v48, s[96:99], 0 offen offset:1024// 0000000050F0: E05C1400 80985430
	v_mfma_f32_16x16x32_fp8_fp8 v[216:219], a[20:21], a[228:229], v[216:219]// 0000000050F8: D3F300D8 1F63C914
	v_mfma_f32_16x16x32_fp8_fp8 v[216:219], a[22:23], a[230:231], v[216:219]// 000000005100: D3F300D8 1F63CD16
	buffer_load_dword v45, s[20:23], 0 offen lds               // 000000005108: E0511000 8005002D
	s_mul_i32 s56, s86, s64                                    // 000000005110: 92384056
	v_lshl_add_u32 v43, v0, 2, s56                             // 000000005114: D1FD002B 00E10500
	s_add_u32 m0, 0x700, s48                                   // 00000000511C: 807C30FF 00000700
	v_mfma_f32_16x16x32_fp8_fp8 v[220:223], a[16:17], a[240:241], 0// 000000005124: D3F300DC 1A03E110
	v_mfma_f32_16x16x32_fp8_fp8 v[220:223], a[18:19], a[242:243], v[220:223]// 00000000512C: D3F300DC 1F73E512
	v_mfma_f32_16x16x32_fp8_fp8 v[220:223], a[20:21], a[244:245], v[220:223]// 000000005134: D3F300DC 1F73E914
	v_mfma_f32_16x16x32_fp8_fp8 v[220:223], a[22:23], a[246:247], v[220:223]// 00000000513C: D3F300DC 1F73ED16
	buffer_load_dword v46, s[20:23], 0 offen lds               // 000000005144: E0511000 8005002E
	s_mul_i32 s56, s87, s64                                    // 00000000514C: 92384057
	v_lshl_add_u32 v44, v0, 2, s56                             // 000000005150: D1FD002C 00E10500
	s_add_u32 m0, 0x800, s48                                   // 000000005158: 807C30FF 00000800
	s_waitcnt vmcnt(31)                                        // 000000005160: BF8C4F7F
	v_mfma_f32_16x16x32_fp8_fp8 v[224:227], a[32:33], a[192:193], 0// 000000005164: D3F300E0 1A038120
	v_mfma_f32_16x16x32_fp8_fp8 v[224:227], a[34:35], a[194:195], v[224:227]// 00000000516C: D3F300E0 1F838522
	buffer_load_dwordx4 a[96:99], v49, s[96:99], 0 offen       // 000000005174: E05C1000 80986031
	v_mfma_f32_16x16x32_fp8_fp8 v[224:227], a[36:37], a[196:197], v[224:227]// 00000000517C: D3F300E0 1F838924
	v_mfma_f32_16x16x32_fp8_fp8 v[224:227], a[38:39], a[198:199], v[224:227]// 000000005184: D3F300E0 1F838D26
	buffer_load_dword v43, s[20:23], 0 offen lds               // 00000000518C: E0511000 8005002B
	s_mul_i32 s56, s88, s64                                    // 000000005194: 92384058
	v_lshl_add_u32 v45, v0, 2, s56                             // 000000005198: D1FD002D 00E10500
	s_add_u32 m0, 0x900, s48                                   // 0000000051A0: 807C30FF 00000900
	v_mfma_f32_16x16x32_fp8_fp8 v[228:231], a[32:33], a[208:209], 0// 0000000051A8: D3F300E4 1A03A120
	v_mfma_f32_16x16x32_fp8_fp8 v[228:231], a[34:35], a[210:211], v[228:231]// 0000000051B0: D3F300E4 1F93A522
	v_mfma_f32_16x16x32_fp8_fp8 v[228:231], a[36:37], a[212:213], v[228:231]// 0000000051B8: D3F300E4 1F93A924
	v_mfma_f32_16x16x32_fp8_fp8 v[228:231], a[38:39], a[214:215], v[228:231]// 0000000051C0: D3F300E4 1F93AD26
	buffer_load_dword v44, s[20:23], 0 offen lds               // 0000000051C8: E0511000 8005002C
	s_mul_i32 s56, s89, s64                                    // 0000000051D0: 92384059
	v_lshl_add_u32 v46, v0, 2, s56                             // 0000000051D4: D1FD002E 00E10500
	s_add_u32 m0, 0xa00, s48                                   // 0000000051DC: 807C30FF 00000A00
	v_mfma_f32_16x16x32_fp8_fp8 v[232:235], a[32:33], a[224:225], 0// 0000000051E4: D3F300E8 1A03C120
	v_mfma_f32_16x16x32_fp8_fp8 v[232:235], a[34:35], a[226:227], v[232:235]// 0000000051EC: D3F300E8 1FA3C522
	buffer_load_dwordx4 a[100:103], v49, s[96:99], 0 offen offset:1024// 0000000051F4: E05C1400 80986431
	v_mfma_f32_16x16x32_fp8_fp8 v[232:235], a[36:37], a[228:229], v[232:235]// 0000000051FC: D3F300E8 1FA3C924
	v_mfma_f32_16x16x32_fp8_fp8 v[232:235], a[38:39], a[230:231], v[232:235]// 000000005204: D3F300E8 1FA3CD26
	buffer_load_dword v45, s[20:23], 0 offen lds               // 00000000520C: E0511000 8005002D
	s_mul_i32 s56, s90, s64                                    // 000000005214: 9238405A
	v_lshl_add_u32 v43, v0, 2, s56                             // 000000005218: D1FD002B 00E10500
	s_add_u32 m0, 0xb00, s48                                   // 000000005220: 807C30FF 00000B00
	v_mfma_f32_16x16x32_fp8_fp8 v[236:239], a[32:33], a[240:241], 0// 000000005228: D3F300EC 1A03E120
	v_mfma_f32_16x16x32_fp8_fp8 v[236:239], a[34:35], a[242:243], v[236:239]// 000000005230: D3F300EC 1FB3E522
	v_mfma_f32_16x16x32_fp8_fp8 v[236:239], a[36:37], a[244:245], v[236:239]// 000000005238: D3F300EC 1FB3E924
	v_mfma_f32_16x16x32_fp8_fp8 v[236:239], a[38:39], a[246:247], v[236:239]// 000000005240: D3F300EC 1FB3ED26
	buffer_load_dword v46, s[20:23], 0 offen lds               // 000000005248: E0511000 8005002E
	s_mul_i32 s56, s91, s64                                    // 000000005250: 9238405B
	v_lshl_add_u32 v44, v0, 2, s56                             // 000000005254: D1FD002C 00E10500
	s_add_u32 m0, 0xc00, s48                                   // 00000000525C: 807C30FF 00000C00
	s_waitcnt vmcnt(31)                                        // 000000005264: BF8C4F7F
	v_mfma_f32_16x16x32_fp8_fp8 v[240:243], a[48:49], a[192:193], 0// 000000005268: D3F300F0 1A038130
	v_mfma_f32_16x16x32_fp8_fp8 v[240:243], a[50:51], a[194:195], v[240:243]// 000000005270: D3F300F0 1FC38532
	buffer_load_dwordx4 a[112:115], v50, s[96:99], 0 offen     // 000000005278: E05C1000 80987032
	v_mfma_f32_16x16x32_fp8_fp8 v[240:243], a[52:53], a[196:197], v[240:243]// 000000005280: D3F300F0 1FC38934
	v_mfma_f32_16x16x32_fp8_fp8 v[240:243], a[54:55], a[198:199], v[240:243]// 000000005288: D3F300F0 1FC38D36
	buffer_load_dword v43, s[20:23], 0 offen lds               // 000000005290: E0511000 8005002B
	s_mul_i32 s56, s92, s64                                    // 000000005298: 9238405C
	v_lshl_add_u32 v45, v0, 2, s56                             // 00000000529C: D1FD002D 00E10500
	s_add_u32 m0, 0xd00, s48                                   // 0000000052A4: 807C30FF 00000D00
	v_mfma_f32_16x16x32_fp8_fp8 v[244:247], a[48:49], a[208:209], 0// 0000000052AC: D3F300F4 1A03A130
	v_mfma_f32_16x16x32_fp8_fp8 v[244:247], a[50:51], a[210:211], v[244:247]// 0000000052B4: D3F300F4 1FD3A532
	v_mfma_f32_16x16x32_fp8_fp8 v[244:247], a[52:53], a[212:213], v[244:247]// 0000000052BC: D3F300F4 1FD3A934
	v_mfma_f32_16x16x32_fp8_fp8 v[244:247], a[54:55], a[214:215], v[244:247]// 0000000052C4: D3F300F4 1FD3AD36
	buffer_load_dword v44, s[20:23], 0 offen lds               // 0000000052CC: E0511000 8005002C
	s_mul_i32 s56, s93, s64                                    // 0000000052D4: 9238405D
	v_lshl_add_u32 v46, v0, 2, s56                             // 0000000052D8: D1FD002E 00E10500
	s_add_u32 m0, 0xe00, s48                                   // 0000000052E0: 807C30FF 00000E00
	v_mfma_f32_16x16x32_fp8_fp8 v[248:251], a[48:49], a[224:225], 0// 0000000052E8: D3F300F8 1A03C130
	v_mfma_f32_16x16x32_fp8_fp8 v[248:251], a[50:51], a[226:227], v[248:251]// 0000000052F0: D3F300F8 1FE3C532
	buffer_load_dwordx4 a[116:119], v50, s[96:99], 0 offen offset:1024// 0000000052F8: E05C1400 80987432
	v_mfma_f32_16x16x32_fp8_fp8 v[248:251], a[52:53], a[228:229], v[248:251]// 000000005300: D3F300F8 1FE3C934
	v_mfma_f32_16x16x32_fp8_fp8 v[248:251], a[54:55], a[230:231], v[248:251]// 000000005308: D3F300F8 1FE3CD36
	buffer_load_dword v45, s[20:23], 0 offen lds               // 000000005310: E0511000 8005002D
	s_mul_i32 s56, s78, s64                                    // 000000005318: 9238404E
	v_lshl_add_u32 v43, v0, 2, s56                             // 00000000531C: D1FD002B 00E10500
	s_add_u32 m0, 0xf00, s48                                   // 000000005324: 807C30FF 00000F00
	v_mfma_f32_16x16x32_fp8_fp8 v[252:255], a[48:49], a[240:241], 0// 00000000532C: D3F300FC 1A03E130
	v_mfma_f32_16x16x32_fp8_fp8 v[252:255], a[50:51], a[242:243], v[252:255]// 000000005334: D3F300FC 1FF3E532
	v_mfma_f32_16x16x32_fp8_fp8 v[252:255], a[52:53], a[244:245], v[252:255]// 00000000533C: D3F300FC 1FF3E934
	v_mfma_f32_16x16x32_fp8_fp8 v[252:255], a[54:55], a[246:247], v[252:255]// 000000005344: D3F300FC 1FF3ED36
	buffer_load_dword v46, s[20:23], 0 offen lds               // 00000000534C: E0511000 8005002E
	s_mul_i32 s56, s79, s64                                    // 000000005354: 9238404F
	v_lshl_add_u32 v44, v0, 2, s56                             // 000000005358: D1FD002C 00E10500
	s_add_u32 m0, s48, s72                                     // 000000005360: 807C4830
	buffer_load_dword v9, s[28:31], 0 offen lds                // 000000005364: E0511000 80070009
	s_add_u32 m0, m0, 0x400                                    // 00000000536C: 807CFF7C 00000400
	buffer_load_dword v11, s[28:31], 0 offen lds               // 000000005374: E0511000 8007000B
	s_add_u32 m0, 0, s49                                       // 00000000537C: 807C3180
	buffer_load_dword v38, v19, s[32:35], 0 offen              // 000000005380: E0501000 80082613
	v_mul_f32_dpp v60, v37, v29 row_newbcast:0 row_mask:0xf bank_mask:0xf// 000000005388: 0A783AFA FF015025
	v_mov_b32_e32 v61, v60                                     // 000000005390: 7E7A033C
	v_pk_fma_f32 v[64:65], v[192:193], v[60:61], v[64:65]      // 000000005394: D3B04040 1D0279C0
	v_pk_fma_f32 v[66:67], v[194:195], v[60:61], v[66:67]      // 00000000539C: D3B04042 1D0A79C2
	v_pk_fma_f32 v[80:81], v[208:209], v[60:61], v[80:81]      // 0000000053A4: D3B04050 1D4279D0
	v_pk_fma_f32 v[82:83], v[210:211], v[60:61], v[82:83]      // 0000000053AC: D3B04052 1D4A79D2
	v_mul_f32_dpp v60, v37, v29 row_newbcast:1 row_mask:0xf bank_mask:0xf// 0000000053B4: 0A783AFA FF015125
	v_mov_b32_e32 v61, v60                                     // 0000000053BC: 7E7A033C
	v_pk_fma_f32 v[96:97], v[224:225], v[60:61], v[96:97]      // 0000000053C0: D3B04060 1D8279E0
	v_pk_fma_f32 v[98:99], v[226:227], v[60:61], v[98:99]      // 0000000053C8: D3B04062 1D8A79E2
	v_pk_fma_f32 v[112:113], v[240:241], v[60:61], v[112:113]  // 0000000053D0: D3B04070 1DC279F0
	v_pk_fma_f32 v[114:115], v[242:243], v[60:61], v[114:115]  // 0000000053D8: D3B04072 1DCA79F2
	v_mul_f32_dpp v60, v37, v30 row_newbcast:0 row_mask:0xf bank_mask:0xf// 0000000053E0: 0A783CFA FF015025
	v_mov_b32_e32 v61, v60                                     // 0000000053E8: 7E7A033C
	v_pk_fma_f32 v[68:69], v[196:197], v[60:61], v[68:69]      // 0000000053EC: D3B04044 1D1279C4
	v_pk_fma_f32 v[70:71], v[198:199], v[60:61], v[70:71]      // 0000000053F4: D3B04046 1D1A79C6
	v_pk_fma_f32 v[84:85], v[212:213], v[60:61], v[84:85]      // 0000000053FC: D3B04054 1D5279D4
	v_pk_fma_f32 v[86:87], v[214:215], v[60:61], v[86:87]      // 000000005404: D3B04056 1D5A79D6
	v_mul_f32_dpp v60, v37, v30 row_newbcast:1 row_mask:0xf bank_mask:0xf// 00000000540C: 0A783CFA FF015125
	v_mov_b32_e32 v61, v60                                     // 000000005414: 7E7A033C
	v_pk_fma_f32 v[100:101], v[228:229], v[60:61], v[100:101]  // 000000005418: D3B04064 1D9279E4
	v_pk_fma_f32 v[102:103], v[230:231], v[60:61], v[102:103]  // 000000005420: D3B04066 1D9A79E6
	v_pk_fma_f32 v[116:117], v[244:245], v[60:61], v[116:117]  // 000000005428: D3B04074 1DD279F4
	v_pk_fma_f32 v[118:119], v[246:247], v[60:61], v[118:119]  // 000000005430: D3B04076 1DDA79F6
	v_mul_f32_dpp v60, v37, v31 row_newbcast:0 row_mask:0xf bank_mask:0xf// 000000005438: 0A783EFA FF015025
	v_mov_b32_e32 v61, v60                                     // 000000005440: 7E7A033C
	v_pk_fma_f32 v[72:73], v[200:201], v[60:61], v[72:73]      // 000000005444: D3B04048 1D2279C8
	v_pk_fma_f32 v[74:75], v[202:203], v[60:61], v[74:75]      // 00000000544C: D3B0404A 1D2A79CA
	v_pk_fma_f32 v[88:89], v[216:217], v[60:61], v[88:89]      // 000000005454: D3B04058 1D6279D8
	v_pk_fma_f32 v[90:91], v[218:219], v[60:61], v[90:91]      // 00000000545C: D3B0405A 1D6A79DA
	v_mul_f32_dpp v60, v37, v31 row_newbcast:1 row_mask:0xf bank_mask:0xf// 000000005464: 0A783EFA FF015125
	v_mov_b32_e32 v61, v60                                     // 00000000546C: 7E7A033C
	v_pk_fma_f32 v[104:105], v[232:233], v[60:61], v[104:105]  // 000000005470: D3B04068 1DA279E8
	v_pk_fma_f32 v[106:107], v[234:235], v[60:61], v[106:107]  // 000000005478: D3B0406A 1DAA79EA
	v_pk_fma_f32 v[120:121], v[248:249], v[60:61], v[120:121]  // 000000005480: D3B04078 1DE279F8
	v_pk_fma_f32 v[122:123], v[250:251], v[60:61], v[122:123]  // 000000005488: D3B0407A 1DEA79FA
	v_mul_f32_dpp v60, v37, v32 row_newbcast:0 row_mask:0xf bank_mask:0xf// 000000005490: 0A7840FA FF015025
	v_mov_b32_e32 v61, v60                                     // 000000005498: 7E7A033C
	v_pk_fma_f32 v[76:77], v[204:205], v[60:61], v[76:77]      // 00000000549C: D3B0404C 1D3279CC
	v_pk_fma_f32 v[78:79], v[206:207], v[60:61], v[78:79]      // 0000000054A4: D3B0404E 1D3A79CE
	v_pk_fma_f32 v[92:93], v[220:221], v[60:61], v[92:93]      // 0000000054AC: D3B0405C 1D7279DC
	v_pk_fma_f32 v[94:95], v[222:223], v[60:61], v[94:95]      // 0000000054B4: D3B0405E 1D7A79DE
	v_mul_f32_dpp v60, v37, v32 row_newbcast:1 row_mask:0xf bank_mask:0xf// 0000000054BC: 0A7840FA FF015125
	v_mov_b32_e32 v61, v60                                     // 0000000054C4: 7E7A033C
	v_pk_fma_f32 v[108:109], v[236:237], v[60:61], v[108:109]  // 0000000054C8: D3B0406C 1DB279EC
	v_pk_fma_f32 v[110:111], v[238:239], v[60:61], v[110:111]  // 0000000054D0: D3B0406E 1DBA79EE
	v_pk_fma_f32 v[124:125], v[252:253], v[60:61], v[124:125]  // 0000000054D8: D3B0407C 1DF279FC
	v_pk_fma_f32 v[126:127], v[254:255], v[60:61], v[126:127]  // 0000000054E0: D3B0407E 1DFA79FE
	s_waitcnt vmcnt(31)                                        // 0000000054E8: BF8C4F7F
	v_mfma_f32_16x16x32_fp8_fp8 v[192:195], a[8:9], a[200:201], 0// 0000000054EC: D3F300C0 1A039108
	v_mfma_f32_16x16x32_fp8_fp8 v[192:195], a[10:11], a[202:203], v[192:195]// 0000000054F4: D3F300C0 1F03950A
	buffer_load_dwordx4 a[72:75], v47, s[96:99], 0 offen offset:2048// 0000000054FC: E05C1800 8098482F
	v_mfma_f32_16x16x32_fp8_fp8 v[192:195], a[12:13], a[204:205], v[192:195]// 000000005504: D3F300C0 1F03990C
	v_mfma_f32_16x16x32_fp8_fp8 v[192:195], a[14:15], a[206:207], v[192:195]// 00000000550C: D3F300C0 1F039D0E
	v_mfma_f32_16x16x32_fp8_fp8 v[196:199], a[8:9], a[216:217], 0// 000000005514: D3F300C4 1A03B108
	v_mfma_f32_16x16x32_fp8_fp8 v[196:199], a[10:11], a[218:219], v[196:199]// 00000000551C: D3F300C4 1F13B50A
	v_mfma_f32_16x16x32_fp8_fp8 v[196:199], a[12:13], a[220:221], v[196:199]// 000000005524: D3F300C4 1F13B90C
	v_mfma_f32_16x16x32_fp8_fp8 v[196:199], a[14:15], a[222:223], v[196:199]// 00000000552C: D3F300C4 1F13BD0E
	v_mfma_f32_16x16x32_fp8_fp8 v[200:203], a[8:9], a[232:233], 0// 000000005534: D3F300C8 1A03D108
	v_mfma_f32_16x16x32_fp8_fp8 v[200:203], a[10:11], a[234:235], v[200:203]// 00000000553C: D3F300C8 1F23D50A
	buffer_load_dwordx4 a[76:79], v47, s[96:99], 0 offen offset:3072// 000000005544: E05C1C00 80984C2F
	v_mfma_f32_16x16x32_fp8_fp8 v[200:203], a[12:13], a[236:237], v[200:203]// 00000000554C: D3F300C8 1F23D90C
	v_mfma_f32_16x16x32_fp8_fp8 v[200:203], a[14:15], a[238:239], v[200:203]// 000000005554: D3F300C8 1F23DD0E
	v_mfma_f32_16x16x32_fp8_fp8 v[204:207], a[8:9], a[248:249], 0// 00000000555C: D3F300CC 1A03F108
	v_mfma_f32_16x16x32_fp8_fp8 v[204:207], a[10:11], a[250:251], v[204:207]// 000000005564: D3F300CC 1F33F50A
	v_mfma_f32_16x16x32_fp8_fp8 v[204:207], a[12:13], a[252:253], v[204:207]// 00000000556C: D3F300CC 1F33F90C
	v_mfma_f32_16x16x32_fp8_fp8 v[204:207], a[14:15], a[254:255], v[204:207]// 000000005574: D3F300CC 1F33FD0E
	s_waitcnt vmcnt(31)                                        // 00000000557C: BF8C4F7F
	v_mfma_f32_16x16x32_fp8_fp8 v[208:211], a[24:25], a[200:201], 0// 000000005580: D3F300D0 1A039118
	v_mfma_f32_16x16x32_fp8_fp8 v[208:211], a[26:27], a[202:203], v[208:211]// 000000005588: D3F300D0 1F43951A
	buffer_load_dwordx4 a[88:91], v48, s[96:99], 0 offen offset:2048// 000000005590: E05C1800 80985830
	v_mfma_f32_16x16x32_fp8_fp8 v[208:211], a[28:29], a[204:205], v[208:211]// 000000005598: D3F300D0 1F43991C
	v_mfma_f32_16x16x32_fp8_fp8 v[208:211], a[30:31], a[206:207], v[208:211]// 0000000055A0: D3F300D0 1F439D1E
	v_mfma_f32_16x16x32_fp8_fp8 v[212:215], a[24:25], a[216:217], 0// 0000000055A8: D3F300D4 1A03B118
	v_mfma_f32_16x16x32_fp8_fp8 v[212:215], a[26:27], a[218:219], v[212:215]// 0000000055B0: D3F300D4 1F53B51A
	v_mfma_f32_16x16x32_fp8_fp8 v[212:215], a[28:29], a[220:221], v[212:215]// 0000000055B8: D3F300D4 1F53B91C
	v_mfma_f32_16x16x32_fp8_fp8 v[212:215], a[30:31], a[222:223], v[212:215]// 0000000055C0: D3F300D4 1F53BD1E
	v_mfma_f32_16x16x32_fp8_fp8 v[216:219], a[24:25], a[232:233], 0// 0000000055C8: D3F300D8 1A03D118
	v_mfma_f32_16x16x32_fp8_fp8 v[216:219], a[26:27], a[234:235], v[216:219]// 0000000055D0: D3F300D8 1F63D51A
	buffer_load_dwordx4 a[92:95], v48, s[96:99], 0 offen offset:3072// 0000000055D8: E05C1C00 80985C30
	v_mfma_f32_16x16x32_fp8_fp8 v[216:219], a[28:29], a[236:237], v[216:219]// 0000000055E0: D3F300D8 1F63D91C
	v_mfma_f32_16x16x32_fp8_fp8 v[216:219], a[30:31], a[238:239], v[216:219]// 0000000055E8: D3F300D8 1F63DD1E
	v_mfma_f32_16x16x32_fp8_fp8 v[220:223], a[24:25], a[248:249], 0// 0000000055F0: D3F300DC 1A03F118
	v_mfma_f32_16x16x32_fp8_fp8 v[220:223], a[26:27], a[250:251], v[220:223]// 0000000055F8: D3F300DC 1F73F51A
	v_mfma_f32_16x16x32_fp8_fp8 v[220:223], a[28:29], a[252:253], v[220:223]// 000000005600: D3F300DC 1F73F91C
	v_mfma_f32_16x16x32_fp8_fp8 v[220:223], a[30:31], a[254:255], v[220:223]// 000000005608: D3F300DC 1F73FD1E
	s_waitcnt vmcnt(31)                                        // 000000005610: BF8C4F7F
	v_mfma_f32_16x16x32_fp8_fp8 v[224:227], a[40:41], a[200:201], 0// 000000005614: D3F300E0 1A039128
	v_mfma_f32_16x16x32_fp8_fp8 v[224:227], a[42:43], a[202:203], v[224:227]// 00000000561C: D3F300E0 1F83952A
	buffer_load_dwordx4 a[104:107], v49, s[96:99], 0 offen offset:2048// 000000005624: E05C1800 80986831
	v_mfma_f32_16x16x32_fp8_fp8 v[224:227], a[44:45], a[204:205], v[224:227]// 00000000562C: D3F300E0 1F83992C
	v_mfma_f32_16x16x32_fp8_fp8 v[224:227], a[46:47], a[206:207], v[224:227]// 000000005634: D3F300E0 1F839D2E
	v_mfma_f32_16x16x32_fp8_fp8 v[228:231], a[40:41], a[216:217], 0// 00000000563C: D3F300E4 1A03B128
	v_mfma_f32_16x16x32_fp8_fp8 v[228:231], a[42:43], a[218:219], v[228:231]// 000000005644: D3F300E4 1F93B52A
	v_mfma_f32_16x16x32_fp8_fp8 v[228:231], a[44:45], a[220:221], v[228:231]// 00000000564C: D3F300E4 1F93B92C
	v_mfma_f32_16x16x32_fp8_fp8 v[228:231], a[46:47], a[222:223], v[228:231]// 000000005654: D3F300E4 1F93BD2E
	v_mfma_f32_16x16x32_fp8_fp8 v[232:235], a[40:41], a[232:233], 0// 00000000565C: D3F300E8 1A03D128
	v_mfma_f32_16x16x32_fp8_fp8 v[232:235], a[42:43], a[234:235], v[232:235]// 000000005664: D3F300E8 1FA3D52A
	buffer_load_dwordx4 a[108:111], v49, s[96:99], 0 offen offset:3072// 00000000566C: E05C1C00 80986C31
	v_mfma_f32_16x16x32_fp8_fp8 v[232:235], a[44:45], a[236:237], v[232:235]// 000000005674: D3F300E8 1FA3D92C
	v_mfma_f32_16x16x32_fp8_fp8 v[232:235], a[46:47], a[238:239], v[232:235]// 00000000567C: D3F300E8 1FA3DD2E
	v_mfma_f32_16x16x32_fp8_fp8 v[236:239], a[40:41], a[248:249], 0// 000000005684: D3F300EC 1A03F128
	v_mfma_f32_16x16x32_fp8_fp8 v[236:239], a[42:43], a[250:251], v[236:239]// 00000000568C: D3F300EC 1FB3F52A
	v_mfma_f32_16x16x32_fp8_fp8 v[236:239], a[44:45], a[252:253], v[236:239]// 000000005694: D3F300EC 1FB3F92C
	v_mfma_f32_16x16x32_fp8_fp8 v[236:239], a[46:47], a[254:255], v[236:239]// 00000000569C: D3F300EC 1FB3FD2E
	s_waitcnt vmcnt(31)                                        // 0000000056A4: BF8C4F7F
	v_mfma_f32_16x16x32_fp8_fp8 v[240:243], a[56:57], a[200:201], 0// 0000000056A8: D3F300F0 1A039138
	v_mfma_f32_16x16x32_fp8_fp8 v[240:243], a[58:59], a[202:203], v[240:243]// 0000000056B0: D3F300F0 1FC3953A
	buffer_load_dwordx4 a[120:123], v50, s[96:99], 0 offen offset:2048// 0000000056B8: E05C1800 80987832
	v_mfma_f32_16x16x32_fp8_fp8 v[240:243], a[60:61], a[204:205], v[240:243]// 0000000056C0: D3F300F0 1FC3993C
	v_mfma_f32_16x16x32_fp8_fp8 v[240:243], a[62:63], a[206:207], v[240:243]// 0000000056C8: D3F300F0 1FC39D3E
	v_mfma_f32_16x16x32_fp8_fp8 v[244:247], a[56:57], a[216:217], 0// 0000000056D0: D3F300F4 1A03B138
	v_mfma_f32_16x16x32_fp8_fp8 v[244:247], a[58:59], a[218:219], v[244:247]// 0000000056D8: D3F300F4 1FD3B53A
	v_mfma_f32_16x16x32_fp8_fp8 v[244:247], a[60:61], a[220:221], v[244:247]// 0000000056E0: D3F300F4 1FD3B93C
	v_mfma_f32_16x16x32_fp8_fp8 v[244:247], a[62:63], a[222:223], v[244:247]// 0000000056E8: D3F300F4 1FD3BD3E
	v_mfma_f32_16x16x32_fp8_fp8 v[248:251], a[56:57], a[232:233], 0// 0000000056F0: D3F300F8 1A03D138
	v_mfma_f32_16x16x32_fp8_fp8 v[248:251], a[58:59], a[234:235], v[248:251]// 0000000056F8: D3F300F8 1FE3D53A
	buffer_load_dwordx4 a[124:127], v50, s[96:99], 0 offen offset:3072// 000000005700: E05C1C00 80987C32
	v_mfma_f32_16x16x32_fp8_fp8 v[248:251], a[60:61], a[236:237], v[248:251]// 000000005708: D3F300F8 1FE3D93C
	v_mfma_f32_16x16x32_fp8_fp8 v[248:251], a[62:63], a[238:239], v[248:251]// 000000005710: D3F300F8 1FE3DD3E
	v_mfma_f32_16x16x32_fp8_fp8 v[252:255], a[56:57], a[248:249], 0// 000000005718: D3F300FC 1A03F138
	v_mfma_f32_16x16x32_fp8_fp8 v[252:255], a[58:59], a[250:251], v[252:255]// 000000005720: D3F300FC 1FF3F53A
	v_mfma_f32_16x16x32_fp8_fp8 v[252:255], a[60:61], a[252:253], v[252:255]// 000000005728: D3F300FC 1FF3F93C
	v_mfma_f32_16x16x32_fp8_fp8 v[252:255], a[62:63], a[254:255], v[252:255]// 000000005730: D3F300FC 1FF3FD3E
	v_mul_f32_dpp v60, v37, v33 row_newbcast:2 row_mask:0xf bank_mask:0xf// 000000005738: 0A7842FA FF015225
	v_mov_b32_e32 v61, v60                                     // 000000005740: 7E7A033C
	v_pk_fma_f32 v[64:65], v[192:193], v[60:61], v[64:65]      // 000000005744: D3B04040 1D0279C0
	v_pk_fma_f32 v[66:67], v[194:195], v[60:61], v[66:67]      // 00000000574C: D3B04042 1D0A79C2
	v_pk_fma_f32 v[80:81], v[208:209], v[60:61], v[80:81]      // 000000005754: D3B04050 1D4279D0
	v_pk_fma_f32 v[82:83], v[210:211], v[60:61], v[82:83]      // 00000000575C: D3B04052 1D4A79D2
	v_mul_f32_dpp v60, v37, v33 row_newbcast:3 row_mask:0xf bank_mask:0xf// 000000005764: 0A7842FA FF015325
	v_mov_b32_e32 v61, v60                                     // 00000000576C: 7E7A033C
	v_pk_fma_f32 v[96:97], v[224:225], v[60:61], v[96:97]      // 000000005770: D3B04060 1D8279E0
	v_pk_fma_f32 v[98:99], v[226:227], v[60:61], v[98:99]      // 000000005778: D3B04062 1D8A79E2
	v_pk_fma_f32 v[112:113], v[240:241], v[60:61], v[112:113]  // 000000005780: D3B04070 1DC279F0
	v_pk_fma_f32 v[114:115], v[242:243], v[60:61], v[114:115]  // 000000005788: D3B04072 1DCA79F2
	v_mul_f32_dpp v60, v37, v34 row_newbcast:2 row_mask:0xf bank_mask:0xf// 000000005790: 0A7844FA FF015225
	v_mov_b32_e32 v61, v60                                     // 000000005798: 7E7A033C
	v_pk_fma_f32 v[68:69], v[196:197], v[60:61], v[68:69]      // 00000000579C: D3B04044 1D1279C4
	v_pk_fma_f32 v[70:71], v[198:199], v[60:61], v[70:71]      // 0000000057A4: D3B04046 1D1A79C6
	v_pk_fma_f32 v[84:85], v[212:213], v[60:61], v[84:85]      // 0000000057AC: D3B04054 1D5279D4
	v_pk_fma_f32 v[86:87], v[214:215], v[60:61], v[86:87]      // 0000000057B4: D3B04056 1D5A79D6
	v_mul_f32_dpp v60, v37, v34 row_newbcast:3 row_mask:0xf bank_mask:0xf// 0000000057BC: 0A7844FA FF015325
	v_mov_b32_e32 v61, v60                                     // 0000000057C4: 7E7A033C
	v_pk_fma_f32 v[100:101], v[228:229], v[60:61], v[100:101]  // 0000000057C8: D3B04064 1D9279E4
	v_pk_fma_f32 v[102:103], v[230:231], v[60:61], v[102:103]  // 0000000057D0: D3B04066 1D9A79E6
	v_pk_fma_f32 v[116:117], v[244:245], v[60:61], v[116:117]  // 0000000057D8: D3B04074 1DD279F4
	v_pk_fma_f32 v[118:119], v[246:247], v[60:61], v[118:119]  // 0000000057E0: D3B04076 1DDA79F6
	v_mul_f32_dpp v60, v37, v35 row_newbcast:2 row_mask:0xf bank_mask:0xf// 0000000057E8: 0A7846FA FF015225
	v_mov_b32_e32 v61, v60                                     // 0000000057F0: 7E7A033C
	v_pk_fma_f32 v[72:73], v[200:201], v[60:61], v[72:73]      // 0000000057F4: D3B04048 1D2279C8
	v_pk_fma_f32 v[74:75], v[202:203], v[60:61], v[74:75]      // 0000000057FC: D3B0404A 1D2A79CA
	v_pk_fma_f32 v[88:89], v[216:217], v[60:61], v[88:89]      // 000000005804: D3B04058 1D6279D8
	v_pk_fma_f32 v[90:91], v[218:219], v[60:61], v[90:91]      // 00000000580C: D3B0405A 1D6A79DA
	v_mul_f32_dpp v60, v37, v35 row_newbcast:3 row_mask:0xf bank_mask:0xf// 000000005814: 0A7846FA FF015325
	v_mov_b32_e32 v61, v60                                     // 00000000581C: 7E7A033C
	v_pk_fma_f32 v[104:105], v[232:233], v[60:61], v[104:105]  // 000000005820: D3B04068 1DA279E8
	v_pk_fma_f32 v[106:107], v[234:235], v[60:61], v[106:107]  // 000000005828: D3B0406A 1DAA79EA
	v_pk_fma_f32 v[120:121], v[248:249], v[60:61], v[120:121]  // 000000005830: D3B04078 1DE279F8
	v_pk_fma_f32 v[122:123], v[250:251], v[60:61], v[122:123]  // 000000005838: D3B0407A 1DEA79FA
	v_mul_f32_dpp v60, v37, v36 row_newbcast:2 row_mask:0xf bank_mask:0xf// 000000005840: 0A7848FA FF015225
	v_mov_b32_e32 v61, v60                                     // 000000005848: 7E7A033C
	v_pk_fma_f32 v[76:77], v[204:205], v[60:61], v[76:77]      // 00000000584C: D3B0404C 1D3279CC
	v_pk_fma_f32 v[78:79], v[206:207], v[60:61], v[78:79]      // 000000005854: D3B0404E 1D3A79CE
	v_pk_fma_f32 v[92:93], v[220:221], v[60:61], v[92:93]      // 00000000585C: D3B0405C 1D7279DC
	v_pk_fma_f32 v[94:95], v[222:223], v[60:61], v[94:95]      // 000000005864: D3B0405E 1D7A79DE
	v_mul_f32_dpp v60, v37, v36 row_newbcast:3 row_mask:0xf bank_mask:0xf// 00000000586C: 0A7848FA FF015325
	v_mov_b32_e32 v61, v60                                     // 000000005874: 7E7A033C
	v_pk_fma_f32 v[108:109], v[236:237], v[60:61], v[108:109]  // 000000005878: D3B0406C 1DB279EC
	v_pk_fma_f32 v[110:111], v[238:239], v[60:61], v[110:111]  // 000000005880: D3B0406E 1DBA79EE
	v_pk_fma_f32 v[124:125], v[252:253], v[60:61], v[124:125]  // 000000005888: D3B0407C 1DF279FC
	v_pk_fma_f32 v[126:127], v[254:255], v[60:61], v[126:127]  // 000000005890: D3B0407E 1DFA79FE
	s_add_u32 s56, 0x100, s76                                  // 000000005898: 80384CFF 00000100
	s_cmp_lt_u32 s56, s77                                      // 0000000058A0: BF0A4D38
	s_cselect_b32 s4, s4, 0                                    // 0000000058A4: 85048004
	s_add_u32 s32, s4, s32                                     // 0000000058A8: 80202004
	s_addc_u32 s33, 0, s33                                     // 0000000058AC: 82212180
	s_waitcnt vmcnt(8)                                         // 0000000058B0: BF8C0F78
	s_barrier                                                  // 0000000058B4: BF8A0000
	v_mfma_f32_16x16x32_fp8_fp8 v[192:195], a[64:65], a[192:193], 0// 0000000058B8: D3F300C0 1A038140
	v_mfma_f32_16x16x32_fp8_fp8 v[192:195], a[66:67], a[194:195], v[192:195]// 0000000058C0: D3F300C0 1F038542
	buffer_load_dwordx4 a[0:3], v47, s[24:27], 0 offen         // 0000000058C8: E05C1000 8086002F
	v_mfma_f32_16x16x32_fp8_fp8 v[192:195], a[68:69], a[196:197], v[192:195]// 0000000058D0: D3F300C0 1F038944
	v_mfma_f32_16x16x32_fp8_fp8 v[192:195], a[70:71], a[198:199], v[192:195]// 0000000058D8: D3F300C0 1F038D46
	buffer_load_dword v37, v17, s[32:35], 0 offen              // 0000000058E0: E0501000 80082511
	v_mfma_f32_16x16x32_fp8_fp8 v[196:199], a[64:65], a[208:209], 0// 0000000058E8: D3F300C4 1A03A140
	v_mfma_f32_16x16x32_fp8_fp8 v[196:199], a[66:67], a[210:211], v[196:199]// 0000000058F0: D3F300C4 1F13A542
	v_mfma_f32_16x16x32_fp8_fp8 v[196:199], a[68:69], a[212:213], v[196:199]// 0000000058F8: D3F300C4 1F13A944
	v_mfma_f32_16x16x32_fp8_fp8 v[196:199], a[70:71], a[214:215], v[196:199]// 000000005900: D3F300C4 1F13AD46
	v_mfma_f32_16x16x32_fp8_fp8 v[200:203], a[64:65], a[224:225], 0// 000000005908: D3F300C8 1A03C140
	v_mfma_f32_16x16x32_fp8_fp8 v[200:203], a[66:67], a[226:227], v[200:203]// 000000005910: D3F300C8 1F23C542
	buffer_load_dwordx4 a[4:7], v47, s[24:27], 0 offen offset:1024// 000000005918: E05C1400 8086042F
	v_mfma_f32_16x16x32_fp8_fp8 v[200:203], a[68:69], a[228:229], v[200:203]// 000000005920: D3F300C8 1F23C944
	v_mfma_f32_16x16x32_fp8_fp8 v[200:203], a[70:71], a[230:231], v[200:203]// 000000005928: D3F300C8 1F23CD46
	v_mfma_f32_16x16x32_fp8_fp8 v[204:207], a[64:65], a[240:241], 0// 000000005930: D3F300CC 1A03E140
	v_mfma_f32_16x16x32_fp8_fp8 v[204:207], a[66:67], a[242:243], v[204:207]// 000000005938: D3F300CC 1F33E542
	v_mfma_f32_16x16x32_fp8_fp8 v[204:207], a[68:69], a[244:245], v[204:207]// 000000005940: D3F300CC 1F33E944
	v_mfma_f32_16x16x32_fp8_fp8 v[204:207], a[70:71], a[246:247], v[204:207]// 000000005948: D3F300CC 1F33ED46
	v_mfma_f32_16x16x32_fp8_fp8 v[208:211], a[80:81], a[192:193], 0// 000000005950: D3F300D0 1A038150
	v_mfma_f32_16x16x32_fp8_fp8 v[208:211], a[82:83], a[194:195], v[208:211]// 000000005958: D3F300D0 1F438552
	buffer_load_dwordx4 a[16:19], v48, s[24:27], 0 offen       // 000000005960: E05C1000 80861030
	v_mfma_f32_16x16x32_fp8_fp8 v[208:211], a[84:85], a[196:197], v[208:211]// 000000005968: D3F300D0 1F438954
	v_mfma_f32_16x16x32_fp8_fp8 v[208:211], a[86:87], a[198:199], v[208:211]// 000000005970: D3F300D0 1F438D56
	v_mfma_f32_16x16x32_fp8_fp8 v[212:215], a[80:81], a[208:209], 0// 000000005978: D3F300D4 1A03A150
	v_mfma_f32_16x16x32_fp8_fp8 v[212:215], a[82:83], a[210:211], v[212:215]// 000000005980: D3F300D4 1F53A552
	v_mfma_f32_16x16x32_fp8_fp8 v[212:215], a[84:85], a[212:213], v[212:215]// 000000005988: D3F300D4 1F53A954
	v_mfma_f32_16x16x32_fp8_fp8 v[212:215], a[86:87], a[214:215], v[212:215]// 000000005990: D3F300D4 1F53AD56
	v_mfma_f32_16x16x32_fp8_fp8 v[216:219], a[80:81], a[224:225], 0// 000000005998: D3F300D8 1A03C150
	v_mfma_f32_16x16x32_fp8_fp8 v[216:219], a[82:83], a[226:227], v[216:219]// 0000000059A0: D3F300D8 1F63C552
	buffer_load_dwordx4 a[20:23], v48, s[24:27], 0 offen offset:1024// 0000000059A8: E05C1400 80861430
	v_mfma_f32_16x16x32_fp8_fp8 v[216:219], a[84:85], a[228:229], v[216:219]// 0000000059B0: D3F300D8 1F63C954
	v_mfma_f32_16x16x32_fp8_fp8 v[216:219], a[86:87], a[230:231], v[216:219]// 0000000059B8: D3F300D8 1F63CD56
	v_mfma_f32_16x16x32_fp8_fp8 v[220:223], a[80:81], a[240:241], 0// 0000000059C0: D3F300DC 1A03E150
	v_mfma_f32_16x16x32_fp8_fp8 v[220:223], a[82:83], a[242:243], v[220:223]// 0000000059C8: D3F300DC 1F73E552
	v_mfma_f32_16x16x32_fp8_fp8 v[220:223], a[84:85], a[244:245], v[220:223]// 0000000059D0: D3F300DC 1F73E954
	v_mfma_f32_16x16x32_fp8_fp8 v[220:223], a[86:87], a[246:247], v[220:223]// 0000000059D8: D3F300DC 1F73ED56
	s_waitcnt vmcnt(13)                                        // 0000000059E0: BF8C0F7D
	v_mfma_f32_16x16x32_fp8_fp8 v[224:227], a[96:97], a[192:193], 0// 0000000059E4: D3F300E0 1A038160
	v_mfma_f32_16x16x32_fp8_fp8 v[224:227], a[98:99], a[194:195], v[224:227]// 0000000059EC: D3F300E0 1F838562
	buffer_load_dwordx4 a[32:35], v49, s[24:27], 0 offen       // 0000000059F4: E05C1000 80862031
	v_mfma_f32_16x16x32_fp8_fp8 v[224:227], a[100:101], a[196:197], v[224:227]// 0000000059FC: D3F300E0 1F838964
	v_mfma_f32_16x16x32_fp8_fp8 v[224:227], a[102:103], a[198:199], v[224:227]// 000000005A04: D3F300E0 1F838D66
	ds_read_b128 a[128:131], v2                                // 000000005A0C: DBFE0000 80000002
	ds_read_b128 a[132:135], v2 offset:64                      // 000000005A14: DBFE0040 84000002
	ds_read_b32 v21, v3 offset:16512                           // 000000005A1C: D86C4080 15000003
	ds_read_b32 v22, v3 offset:16768                           // 000000005A24: D86C4180 16000003
	v_mfma_f32_16x16x32_fp8_fp8 v[228:231], a[96:97], a[208:209], 0// 000000005A2C: D3F300E4 1A03A160
	v_mfma_f32_16x16x32_fp8_fp8 v[228:231], a[98:99], a[210:211], v[228:231]// 000000005A34: D3F300E4 1F93A562
	v_mfma_f32_16x16x32_fp8_fp8 v[228:231], a[100:101], a[212:213], v[228:231]// 000000005A3C: D3F300E4 1F93A964
	v_mfma_f32_16x16x32_fp8_fp8 v[228:231], a[102:103], a[214:215], v[228:231]// 000000005A44: D3F300E4 1F93AD66
	ds_read_b128 a[136:139], v2 offset:128                     // 000000005A4C: DBFE0080 88000002
	ds_read_b128 a[140:143], v2 offset:192                     // 000000005A54: DBFE00C0 8C000002
	ds_read_b32 v23, v3 offset:17536                           // 000000005A5C: D86C4480 17000003
	ds_read_b32 v24, v3 offset:17792                           // 000000005A64: D86C4580 18000003
	v_mfma_f32_16x16x32_fp8_fp8 v[232:235], a[96:97], a[224:225], 0// 000000005A6C: D3F300E8 1A03C160
	v_mfma_f32_16x16x32_fp8_fp8 v[232:235], a[98:99], a[226:227], v[232:235]// 000000005A74: D3F300E8 1FA3C562
	buffer_load_dwordx4 a[36:39], v49, s[24:27], 0 offen offset:1024// 000000005A7C: E05C1400 80862431
	v_mfma_f32_16x16x32_fp8_fp8 v[232:235], a[100:101], a[228:229], v[232:235]// 000000005A84: D3F300E8 1FA3C964
	v_mfma_f32_16x16x32_fp8_fp8 v[232:235], a[102:103], a[230:231], v[232:235]// 000000005A8C: D3F300E8 1FA3CD66
	ds_read_b128 a[144:147], v2 offset:1024                    // 000000005A94: DBFE0400 90000002
	ds_read_b128 a[148:151], v2 offset:1088                    // 000000005A9C: DBFE0440 94000002
	ds_read_b32 v25, v3 offset:17024                           // 000000005AA4: D86C4280 19000003
	ds_read_b32 v26, v3 offset:17280                           // 000000005AAC: D86C4380 1A000003
	v_mfma_f32_16x16x32_fp8_fp8 v[236:239], a[96:97], a[240:241], 0// 000000005AB4: D3F300EC 1A03E160
	v_mfma_f32_16x16x32_fp8_fp8 v[236:239], a[98:99], a[242:243], v[236:239]// 000000005ABC: D3F300EC 1FB3E562
	v_mfma_f32_16x16x32_fp8_fp8 v[236:239], a[100:101], a[244:245], v[236:239]// 000000005AC4: D3F300EC 1FB3E964
	v_mfma_f32_16x16x32_fp8_fp8 v[236:239], a[102:103], a[246:247], v[236:239]// 000000005ACC: D3F300EC 1FB3ED66
	ds_read_b128 a[152:155], v2 offset:1152                    // 000000005AD4: DBFE0480 98000002
	ds_read_b128 a[156:159], v2 offset:1216                    // 000000005ADC: DBFE04C0 9C000002
	ds_read_b32 v27, v3 offset:18048                           // 000000005AE4: D86C4680 1B000003
	ds_read_b32 v28, v3 offset:18304                           // 000000005AEC: D86C4780 1C000003
	s_waitcnt vmcnt(13)                                        // 000000005AF4: BF8C0F7D
	v_mfma_f32_16x16x32_fp8_fp8 v[240:243], a[112:113], a[192:193], 0// 000000005AF8: D3F300F0 1A038170
	v_mfma_f32_16x16x32_fp8_fp8 v[240:243], a[114:115], a[194:195], v[240:243]// 000000005B00: D3F300F0 1FC38572
	buffer_load_dwordx4 a[48:51], v50, s[24:27], 0 offen       // 000000005B08: E05C1000 80863032
	v_mfma_f32_16x16x32_fp8_fp8 v[240:243], a[116:117], a[196:197], v[240:243]// 000000005B10: D3F300F0 1FC38974
	v_mfma_f32_16x16x32_fp8_fp8 v[240:243], a[118:119], a[198:199], v[240:243]// 000000005B18: D3F300F0 1FC38D76
	ds_read_b128 a[160:163], v2 offset:2048                    // 000000005B20: DBFE0800 A0000002
	ds_read_b128 a[164:167], v2 offset:2112                    // 000000005B28: DBFE0840 A4000002
	v_mfma_f32_16x16x32_fp8_fp8 v[244:247], a[112:113], a[208:209], 0// 000000005B30: D3F300F4 1A03A170
	v_mfma_f32_16x16x32_fp8_fp8 v[244:247], a[114:115], a[210:211], v[244:247]// 000000005B38: D3F300F4 1FD3A572
	v_mfma_f32_16x16x32_fp8_fp8 v[244:247], a[116:117], a[212:213], v[244:247]// 000000005B40: D3F300F4 1FD3A974
	v_mfma_f32_16x16x32_fp8_fp8 v[244:247], a[118:119], a[214:215], v[244:247]// 000000005B48: D3F300F4 1FD3AD76
	ds_read_b128 a[168:171], v2 offset:2176                    // 000000005B50: DBFE0880 A8000002
	ds_read_b128 a[172:175], v2 offset:2240                    // 000000005B58: DBFE08C0 AC000002
	v_mfma_f32_16x16x32_fp8_fp8 v[248:251], a[112:113], a[224:225], 0// 000000005B60: D3F300F8 1A03C170
	v_mfma_f32_16x16x32_fp8_fp8 v[248:251], a[114:115], a[226:227], v[248:251]// 000000005B68: D3F300F8 1FE3C572
	buffer_load_dwordx4 a[52:55], v50, s[24:27], 0 offen offset:1024// 000000005B70: E05C1400 80863432
	v_mfma_f32_16x16x32_fp8_fp8 v[248:251], a[116:117], a[228:229], v[248:251]// 000000005B78: D3F300F8 1FE3C974
	v_mfma_f32_16x16x32_fp8_fp8 v[248:251], a[118:119], a[230:231], v[248:251]// 000000005B80: D3F300F8 1FE3CD76
	ds_read_b128 a[176:179], v2 offset:3072                    // 000000005B88: DBFE0C00 B0000002
	ds_read_b128 a[180:183], v2 offset:3136                    // 000000005B90: DBFE0C40 B4000002
	v_mfma_f32_16x16x32_fp8_fp8 v[252:255], a[112:113], a[240:241], 0// 000000005B98: D3F300FC 1A03E170
	v_mfma_f32_16x16x32_fp8_fp8 v[252:255], a[114:115], a[242:243], v[252:255]// 000000005BA0: D3F300FC 1FF3E572
	v_mfma_f32_16x16x32_fp8_fp8 v[252:255], a[116:117], a[244:245], v[252:255]// 000000005BA8: D3F300FC 1FF3E974
	v_mfma_f32_16x16x32_fp8_fp8 v[252:255], a[118:119], a[246:247], v[252:255]// 000000005BB0: D3F300FC 1FF3ED76
	ds_read_b128 a[184:187], v2 offset:3200                    // 000000005BB8: DBFE0C80 B8000002
	ds_read_b128 a[188:191], v2 offset:3264                    // 000000005BC0: DBFE0CC0 BC000002
	v_mul_f32_dpp v60, v38, v29 row_newbcast:0 row_mask:0xf bank_mask:0xf// 000000005BC8: 0A783AFA FF015026
	v_mov_b32_e32 v61, v60                                     // 000000005BD0: 7E7A033C
	v_pk_fma_f32 v[128:129], v[192:193], v[60:61], v[128:129]  // 000000005BD4: D3B04080 1E0279C0
	v_pk_fma_f32 v[130:131], v[194:195], v[60:61], v[130:131]  // 000000005BDC: D3B04082 1E0A79C2
	v_pk_fma_f32 v[144:145], v[208:209], v[60:61], v[144:145]  // 000000005BE4: D3B04090 1E4279D0
	v_pk_fma_f32 v[146:147], v[210:211], v[60:61], v[146:147]  // 000000005BEC: D3B04092 1E4A79D2
	v_mul_f32_dpp v60, v38, v29 row_newbcast:1 row_mask:0xf bank_mask:0xf// 000000005BF4: 0A783AFA FF015126
	v_mov_b32_e32 v61, v60                                     // 000000005BFC: 7E7A033C
	v_pk_fma_f32 v[160:161], v[224:225], v[60:61], v[160:161]  // 000000005C00: D3B040A0 1E8279E0
	v_pk_fma_f32 v[162:163], v[226:227], v[60:61], v[162:163]  // 000000005C08: D3B040A2 1E8A79E2
	v_pk_fma_f32 v[176:177], v[240:241], v[60:61], v[176:177]  // 000000005C10: D3B040B0 1EC279F0
	v_pk_fma_f32 v[178:179], v[242:243], v[60:61], v[178:179]  // 000000005C18: D3B040B2 1ECA79F2
	v_mul_f32_dpp v60, v38, v30 row_newbcast:0 row_mask:0xf bank_mask:0xf// 000000005C20: 0A783CFA FF015026
	v_mov_b32_e32 v61, v60                                     // 000000005C28: 7E7A033C
	v_pk_fma_f32 v[132:133], v[196:197], v[60:61], v[132:133]  // 000000005C2C: D3B04084 1E1279C4
	v_pk_fma_f32 v[134:135], v[198:199], v[60:61], v[134:135]  // 000000005C34: D3B04086 1E1A79C6
	v_pk_fma_f32 v[148:149], v[212:213], v[60:61], v[148:149]  // 000000005C3C: D3B04094 1E5279D4
	v_pk_fma_f32 v[150:151], v[214:215], v[60:61], v[150:151]  // 000000005C44: D3B04096 1E5A79D6
	v_mul_f32_dpp v60, v38, v30 row_newbcast:1 row_mask:0xf bank_mask:0xf// 000000005C4C: 0A783CFA FF015126
	v_mov_b32_e32 v61, v60                                     // 000000005C54: 7E7A033C
	v_pk_fma_f32 v[164:165], v[228:229], v[60:61], v[164:165]  // 000000005C58: D3B040A4 1E9279E4
	v_pk_fma_f32 v[166:167], v[230:231], v[60:61], v[166:167]  // 000000005C60: D3B040A6 1E9A79E6
	v_pk_fma_f32 v[180:181], v[244:245], v[60:61], v[180:181]  // 000000005C68: D3B040B4 1ED279F4
	v_pk_fma_f32 v[182:183], v[246:247], v[60:61], v[182:183]  // 000000005C70: D3B040B6 1EDA79F6
	v_mul_f32_dpp v60, v38, v31 row_newbcast:0 row_mask:0xf bank_mask:0xf// 000000005C78: 0A783EFA FF015026
	v_mov_b32_e32 v61, v60                                     // 000000005C80: 7E7A033C
	v_pk_fma_f32 v[136:137], v[200:201], v[60:61], v[136:137]  // 000000005C84: D3B04088 1E2279C8
	v_pk_fma_f32 v[138:139], v[202:203], v[60:61], v[138:139]  // 000000005C8C: D3B0408A 1E2A79CA
	v_pk_fma_f32 v[152:153], v[216:217], v[60:61], v[152:153]  // 000000005C94: D3B04098 1E6279D8
	v_pk_fma_f32 v[154:155], v[218:219], v[60:61], v[154:155]  // 000000005C9C: D3B0409A 1E6A79DA
	v_mul_f32_dpp v60, v38, v31 row_newbcast:1 row_mask:0xf bank_mask:0xf// 000000005CA4: 0A783EFA FF015126
	v_mov_b32_e32 v61, v60                                     // 000000005CAC: 7E7A033C
	v_pk_fma_f32 v[168:169], v[232:233], v[60:61], v[168:169]  // 000000005CB0: D3B040A8 1EA279E8
	v_pk_fma_f32 v[170:171], v[234:235], v[60:61], v[170:171]  // 000000005CB8: D3B040AA 1EAA79EA
	v_pk_fma_f32 v[184:185], v[248:249], v[60:61], v[184:185]  // 000000005CC0: D3B040B8 1EE279F8
	v_pk_fma_f32 v[186:187], v[250:251], v[60:61], v[186:187]  // 000000005CC8: D3B040BA 1EEA79FA
	v_mul_f32_dpp v60, v38, v32 row_newbcast:0 row_mask:0xf bank_mask:0xf// 000000005CD0: 0A7840FA FF015026
	v_mov_b32_e32 v61, v60                                     // 000000005CD8: 7E7A033C
	v_pk_fma_f32 v[140:141], v[204:205], v[60:61], v[140:141]  // 000000005CDC: D3B0408C 1E3279CC
	v_pk_fma_f32 v[142:143], v[206:207], v[60:61], v[142:143]  // 000000005CE4: D3B0408E 1E3A79CE
	v_pk_fma_f32 v[156:157], v[220:221], v[60:61], v[156:157]  // 000000005CEC: D3B0409C 1E7279DC
	v_pk_fma_f32 v[158:159], v[222:223], v[60:61], v[158:159]  // 000000005CF4: D3B0409E 1E7A79DE
	v_mul_f32_dpp v60, v38, v32 row_newbcast:1 row_mask:0xf bank_mask:0xf// 000000005CFC: 0A7840FA FF015126
	v_mov_b32_e32 v61, v60                                     // 000000005D04: 7E7A033C
	v_pk_fma_f32 v[172:173], v[236:237], v[60:61], v[172:173]  // 000000005D08: D3B040AC 1EB279EC
	v_pk_fma_f32 v[174:175], v[238:239], v[60:61], v[174:175]  // 000000005D10: D3B040AE 1EBA79EE
	v_pk_fma_f32 v[188:189], v[252:253], v[60:61], v[188:189]  // 000000005D18: D3B040BC 1EF279FC
	v_pk_fma_f32 v[190:191], v[254:255], v[60:61], v[190:191]  // 000000005D20: D3B040BE 1EFA79FE
	s_waitcnt vmcnt(13)                                        // 000000005D28: BF8C0F7D
	v_mfma_f32_16x16x32_fp8_fp8 v[192:195], a[72:73], a[200:201], 0// 000000005D2C: D3F300C0 1A039148
	v_mfma_f32_16x16x32_fp8_fp8 v[192:195], a[74:75], a[202:203], v[192:195]// 000000005D34: D3F300C0 1F03954A
	buffer_load_dwordx4 a[8:11], v47, s[24:27], 0 offen offset:2048// 000000005D3C: E05C1800 8086082F
	v_mfma_f32_16x16x32_fp8_fp8 v[192:195], a[76:77], a[204:205], v[192:195]// 000000005D44: D3F300C0 1F03994C
	v_mfma_f32_16x16x32_fp8_fp8 v[192:195], a[78:79], a[206:207], v[192:195]// 000000005D4C: D3F300C0 1F039D4E
	v_mfma_f32_16x16x32_fp8_fp8 v[196:199], a[72:73], a[216:217], 0// 000000005D54: D3F300C4 1A03B148
	v_mfma_f32_16x16x32_fp8_fp8 v[196:199], a[74:75], a[218:219], v[196:199]// 000000005D5C: D3F300C4 1F13B54A
	v_mfma_f32_16x16x32_fp8_fp8 v[196:199], a[76:77], a[220:221], v[196:199]// 000000005D64: D3F300C4 1F13B94C
	v_mfma_f32_16x16x32_fp8_fp8 v[196:199], a[78:79], a[222:223], v[196:199]// 000000005D6C: D3F300C4 1F13BD4E
	v_mfma_f32_16x16x32_fp8_fp8 v[200:203], a[72:73], a[232:233], 0// 000000005D74: D3F300C8 1A03D148
	v_mfma_f32_16x16x32_fp8_fp8 v[200:203], a[74:75], a[234:235], v[200:203]// 000000005D7C: D3F300C8 1F23D54A
	buffer_load_dwordx4 a[12:15], v47, s[24:27], 0 offen offset:3072// 000000005D84: E05C1C00 80860C2F
	v_mfma_f32_16x16x32_fp8_fp8 v[200:203], a[76:77], a[236:237], v[200:203]// 000000005D8C: D3F300C8 1F23D94C
	v_mfma_f32_16x16x32_fp8_fp8 v[200:203], a[78:79], a[238:239], v[200:203]// 000000005D94: D3F300C8 1F23DD4E
	v_mfma_f32_16x16x32_fp8_fp8 v[204:207], a[72:73], a[248:249], 0// 000000005D9C: D3F300CC 1A03F148
	v_mfma_f32_16x16x32_fp8_fp8 v[204:207], a[74:75], a[250:251], v[204:207]// 000000005DA4: D3F300CC 1F33F54A
	v_mfma_f32_16x16x32_fp8_fp8 v[204:207], a[76:77], a[252:253], v[204:207]// 000000005DAC: D3F300CC 1F33F94C
	v_mfma_f32_16x16x32_fp8_fp8 v[204:207], a[78:79], a[254:255], v[204:207]// 000000005DB4: D3F300CC 1F33FD4E
	s_waitcnt vmcnt(13)                                        // 000000005DBC: BF8C0F7D
	v_mfma_f32_16x16x32_fp8_fp8 v[208:211], a[88:89], a[200:201], 0// 000000005DC0: D3F300D0 1A039158
	v_mfma_f32_16x16x32_fp8_fp8 v[208:211], a[90:91], a[202:203], v[208:211]// 000000005DC8: D3F300D0 1F43955A
	buffer_load_dwordx4 a[24:27], v48, s[24:27], 0 offen offset:2048// 000000005DD0: E05C1800 80861830
	v_mfma_f32_16x16x32_fp8_fp8 v[208:211], a[92:93], a[204:205], v[208:211]// 000000005DD8: D3F300D0 1F43995C
	v_mfma_f32_16x16x32_fp8_fp8 v[208:211], a[94:95], a[206:207], v[208:211]// 000000005DE0: D3F300D0 1F439D5E
	v_mfma_f32_16x16x32_fp8_fp8 v[212:215], a[88:89], a[216:217], 0// 000000005DE8: D3F300D4 1A03B158
	v_mfma_f32_16x16x32_fp8_fp8 v[212:215], a[90:91], a[218:219], v[212:215]// 000000005DF0: D3F300D4 1F53B55A
	v_mfma_f32_16x16x32_fp8_fp8 v[212:215], a[92:93], a[220:221], v[212:215]// 000000005DF8: D3F300D4 1F53B95C
	v_mfma_f32_16x16x32_fp8_fp8 v[212:215], a[94:95], a[222:223], v[212:215]// 000000005E00: D3F300D4 1F53BD5E
	v_mfma_f32_16x16x32_fp8_fp8 v[216:219], a[88:89], a[232:233], 0// 000000005E08: D3F300D8 1A03D158
	v_mfma_f32_16x16x32_fp8_fp8 v[216:219], a[90:91], a[234:235], v[216:219]// 000000005E10: D3F300D8 1F63D55A
	buffer_load_dwordx4 a[28:31], v48, s[24:27], 0 offen offset:3072// 000000005E18: E05C1C00 80861C30
	v_mfma_f32_16x16x32_fp8_fp8 v[216:219], a[92:93], a[236:237], v[216:219]// 000000005E20: D3F300D8 1F63D95C
	v_mfma_f32_16x16x32_fp8_fp8 v[216:219], a[94:95], a[238:239], v[216:219]// 000000005E28: D3F300D8 1F63DD5E
	v_mfma_f32_16x16x32_fp8_fp8 v[220:223], a[88:89], a[248:249], 0// 000000005E30: D3F300DC 1A03F158
	v_mfma_f32_16x16x32_fp8_fp8 v[220:223], a[90:91], a[250:251], v[220:223]// 000000005E38: D3F300DC 1F73F55A
	v_mfma_f32_16x16x32_fp8_fp8 v[220:223], a[92:93], a[252:253], v[220:223]// 000000005E40: D3F300DC 1F73F95C
	v_mfma_f32_16x16x32_fp8_fp8 v[220:223], a[94:95], a[254:255], v[220:223]// 000000005E48: D3F300DC 1F73FD5E
	s_waitcnt vmcnt(13)                                        // 000000005E50: BF8C0F7D
	v_mfma_f32_16x16x32_fp8_fp8 v[224:227], a[104:105], a[200:201], 0// 000000005E54: D3F300E0 1A039168
	v_mfma_f32_16x16x32_fp8_fp8 v[224:227], a[106:107], a[202:203], v[224:227]// 000000005E5C: D3F300E0 1F83956A
	buffer_load_dwordx4 a[40:43], v49, s[24:27], 0 offen offset:2048// 000000005E64: E05C1800 80862831
	v_mfma_f32_16x16x32_fp8_fp8 v[224:227], a[108:109], a[204:205], v[224:227]// 000000005E6C: D3F300E0 1F83996C
	v_mfma_f32_16x16x32_fp8_fp8 v[224:227], a[110:111], a[206:207], v[224:227]// 000000005E74: D3F300E0 1F839D6E
	v_mfma_f32_16x16x32_fp8_fp8 v[228:231], a[104:105], a[216:217], 0// 000000005E7C: D3F300E4 1A03B168
	v_mfma_f32_16x16x32_fp8_fp8 v[228:231], a[106:107], a[218:219], v[228:231]// 000000005E84: D3F300E4 1F93B56A
	v_mfma_f32_16x16x32_fp8_fp8 v[228:231], a[108:109], a[220:221], v[228:231]// 000000005E8C: D3F300E4 1F93B96C
	v_mfma_f32_16x16x32_fp8_fp8 v[228:231], a[110:111], a[222:223], v[228:231]// 000000005E94: D3F300E4 1F93BD6E
	v_mfma_f32_16x16x32_fp8_fp8 v[232:235], a[104:105], a[232:233], 0// 000000005E9C: D3F300E8 1A03D168
	v_mfma_f32_16x16x32_fp8_fp8 v[232:235], a[106:107], a[234:235], v[232:235]// 000000005EA4: D3F300E8 1FA3D56A
	buffer_load_dwordx4 a[44:47], v49, s[24:27], 0 offen offset:3072// 000000005EAC: E05C1C00 80862C31
	v_mfma_f32_16x16x32_fp8_fp8 v[232:235], a[108:109], a[236:237], v[232:235]// 000000005EB4: D3F300E8 1FA3D96C
	v_mfma_f32_16x16x32_fp8_fp8 v[232:235], a[110:111], a[238:239], v[232:235]// 000000005EBC: D3F300E8 1FA3DD6E
	v_mfma_f32_16x16x32_fp8_fp8 v[236:239], a[104:105], a[248:249], 0// 000000005EC4: D3F300EC 1A03F168
	v_mfma_f32_16x16x32_fp8_fp8 v[236:239], a[106:107], a[250:251], v[236:239]// 000000005ECC: D3F300EC 1FB3F56A
	v_mfma_f32_16x16x32_fp8_fp8 v[236:239], a[108:109], a[252:253], v[236:239]// 000000005ED4: D3F300EC 1FB3F96C
	v_mfma_f32_16x16x32_fp8_fp8 v[236:239], a[110:111], a[254:255], v[236:239]// 000000005EDC: D3F300EC 1FB3FD6E
	s_waitcnt vmcnt(13)                                        // 000000005EE4: BF8C0F7D
	v_mfma_f32_16x16x32_fp8_fp8 v[240:243], a[120:121], a[200:201], 0// 000000005EE8: D3F300F0 1A039178
	v_mfma_f32_16x16x32_fp8_fp8 v[240:243], a[122:123], a[202:203], v[240:243]// 000000005EF0: D3F300F0 1FC3957A
	buffer_load_dwordx4 a[56:59], v50, s[24:27], 0 offen offset:2048// 000000005EF8: E05C1800 80863832
	v_mfma_f32_16x16x32_fp8_fp8 v[240:243], a[124:125], a[204:205], v[240:243]// 000000005F00: D3F300F0 1FC3997C
	v_mfma_f32_16x16x32_fp8_fp8 v[240:243], a[126:127], a[206:207], v[240:243]// 000000005F08: D3F300F0 1FC39D7E
	v_mfma_f32_16x16x32_fp8_fp8 v[244:247], a[120:121], a[216:217], 0// 000000005F10: D3F300F4 1A03B178
	v_mfma_f32_16x16x32_fp8_fp8 v[244:247], a[122:123], a[218:219], v[244:247]// 000000005F18: D3F300F4 1FD3B57A
	v_mfma_f32_16x16x32_fp8_fp8 v[244:247], a[124:125], a[220:221], v[244:247]// 000000005F20: D3F300F4 1FD3B97C
	v_mfma_f32_16x16x32_fp8_fp8 v[244:247], a[126:127], a[222:223], v[244:247]// 000000005F28: D3F300F4 1FD3BD7E
	v_mfma_f32_16x16x32_fp8_fp8 v[248:251], a[120:121], a[232:233], 0// 000000005F30: D3F300F8 1A03D178
	v_mfma_f32_16x16x32_fp8_fp8 v[248:251], a[122:123], a[234:235], v[248:251]// 000000005F38: D3F300F8 1FE3D57A
	buffer_load_dwordx4 a[60:63], v50, s[24:27], 0 offen offset:3072// 000000005F40: E05C1C00 80863C32
	v_mfma_f32_16x16x32_fp8_fp8 v[248:251], a[124:125], a[236:237], v[248:251]// 000000005F48: D3F300F8 1FE3D97C
	v_mfma_f32_16x16x32_fp8_fp8 v[248:251], a[126:127], a[238:239], v[248:251]// 000000005F50: D3F300F8 1FE3DD7E
	v_mfma_f32_16x16x32_fp8_fp8 v[252:255], a[120:121], a[248:249], 0// 000000005F58: D3F300FC 1A03F178
	v_mfma_f32_16x16x32_fp8_fp8 v[252:255], a[122:123], a[250:251], v[252:255]// 000000005F60: D3F300FC 1FF3F57A
	v_mfma_f32_16x16x32_fp8_fp8 v[252:255], a[124:125], a[252:253], v[252:255]// 000000005F68: D3F300FC 1FF3F97C
	v_mfma_f32_16x16x32_fp8_fp8 v[252:255], a[126:127], a[254:255], v[252:255]// 000000005F70: D3F300FC 1FF3FD7E
	v_mul_f32_dpp v60, v38, v33 row_newbcast:2 row_mask:0xf bank_mask:0xf// 000000005F78: 0A7842FA FF015226
	v_mov_b32_e32 v61, v60                                     // 000000005F80: 7E7A033C
	v_pk_fma_f32 v[128:129], v[192:193], v[60:61], v[128:129]  // 000000005F84: D3B04080 1E0279C0
	v_pk_fma_f32 v[130:131], v[194:195], v[60:61], v[130:131]  // 000000005F8C: D3B04082 1E0A79C2
	v_pk_fma_f32 v[144:145], v[208:209], v[60:61], v[144:145]  // 000000005F94: D3B04090 1E4279D0
	v_pk_fma_f32 v[146:147], v[210:211], v[60:61], v[146:147]  // 000000005F9C: D3B04092 1E4A79D2
	v_mul_f32_dpp v60, v38, v33 row_newbcast:3 row_mask:0xf bank_mask:0xf// 000000005FA4: 0A7842FA FF015326
	v_mov_b32_e32 v61, v60                                     // 000000005FAC: 7E7A033C
	v_pk_fma_f32 v[160:161], v[224:225], v[60:61], v[160:161]  // 000000005FB0: D3B040A0 1E8279E0
	v_pk_fma_f32 v[162:163], v[226:227], v[60:61], v[162:163]  // 000000005FB8: D3B040A2 1E8A79E2
	v_pk_fma_f32 v[176:177], v[240:241], v[60:61], v[176:177]  // 000000005FC0: D3B040B0 1EC279F0
	v_pk_fma_f32 v[178:179], v[242:243], v[60:61], v[178:179]  // 000000005FC8: D3B040B2 1ECA79F2
	v_mul_f32_dpp v60, v38, v34 row_newbcast:2 row_mask:0xf bank_mask:0xf// 000000005FD0: 0A7844FA FF015226
	v_mov_b32_e32 v61, v60                                     // 000000005FD8: 7E7A033C
	v_pk_fma_f32 v[132:133], v[196:197], v[60:61], v[132:133]  // 000000005FDC: D3B04084 1E1279C4
	v_pk_fma_f32 v[134:135], v[198:199], v[60:61], v[134:135]  // 000000005FE4: D3B04086 1E1A79C6
	v_pk_fma_f32 v[148:149], v[212:213], v[60:61], v[148:149]  // 000000005FEC: D3B04094 1E5279D4
	v_pk_fma_f32 v[150:151], v[214:215], v[60:61], v[150:151]  // 000000005FF4: D3B04096 1E5A79D6
	v_mul_f32_dpp v60, v38, v34 row_newbcast:3 row_mask:0xf bank_mask:0xf// 000000005FFC: 0A7844FA FF015326
	v_mov_b32_e32 v61, v60                                     // 000000006004: 7E7A033C
	v_pk_fma_f32 v[164:165], v[228:229], v[60:61], v[164:165]  // 000000006008: D3B040A4 1E9279E4
	v_pk_fma_f32 v[166:167], v[230:231], v[60:61], v[166:167]  // 000000006010: D3B040A6 1E9A79E6
	v_pk_fma_f32 v[180:181], v[244:245], v[60:61], v[180:181]  // 000000006018: D3B040B4 1ED279F4
	v_pk_fma_f32 v[182:183], v[246:247], v[60:61], v[182:183]  // 000000006020: D3B040B6 1EDA79F6
	v_mul_f32_dpp v60, v38, v35 row_newbcast:2 row_mask:0xf bank_mask:0xf// 000000006028: 0A7846FA FF015226
	v_mov_b32_e32 v61, v60                                     // 000000006030: 7E7A033C
	v_pk_fma_f32 v[136:137], v[200:201], v[60:61], v[136:137]  // 000000006034: D3B04088 1E2279C8
	v_pk_fma_f32 v[138:139], v[202:203], v[60:61], v[138:139]  // 00000000603C: D3B0408A 1E2A79CA
	v_pk_fma_f32 v[152:153], v[216:217], v[60:61], v[152:153]  // 000000006044: D3B04098 1E6279D8
	v_pk_fma_f32 v[154:155], v[218:219], v[60:61], v[154:155]  // 00000000604C: D3B0409A 1E6A79DA
	v_mul_f32_dpp v60, v38, v35 row_newbcast:3 row_mask:0xf bank_mask:0xf// 000000006054: 0A7846FA FF015326
	v_mov_b32_e32 v61, v60                                     // 00000000605C: 7E7A033C
	v_pk_fma_f32 v[168:169], v[232:233], v[60:61], v[168:169]  // 000000006060: D3B040A8 1EA279E8
	v_pk_fma_f32 v[170:171], v[234:235], v[60:61], v[170:171]  // 000000006068: D3B040AA 1EAA79EA
	v_pk_fma_f32 v[184:185], v[248:249], v[60:61], v[184:185]  // 000000006070: D3B040B8 1EE279F8
	v_pk_fma_f32 v[186:187], v[250:251], v[60:61], v[186:187]  // 000000006078: D3B040BA 1EEA79FA
	v_mul_f32_dpp v60, v38, v36 row_newbcast:2 row_mask:0xf bank_mask:0xf// 000000006080: 0A7848FA FF015226
	v_mov_b32_e32 v61, v60                                     // 000000006088: 7E7A033C
	v_pk_fma_f32 v[140:141], v[204:205], v[60:61], v[140:141]  // 00000000608C: D3B0408C 1E3279CC
	v_pk_fma_f32 v[142:143], v[206:207], v[60:61], v[142:143]  // 000000006094: D3B0408E 1E3A79CE
	v_pk_fma_f32 v[156:157], v[220:221], v[60:61], v[156:157]  // 00000000609C: D3B0409C 1E7279DC
	v_pk_fma_f32 v[158:159], v[222:223], v[60:61], v[158:159]  // 0000000060A4: D3B0409E 1E7A79DE
	v_mul_f32_dpp v60, v38, v36 row_newbcast:3 row_mask:0xf bank_mask:0xf// 0000000060AC: 0A7848FA FF015326
	v_mov_b32_e32 v61, v60                                     // 0000000060B4: 7E7A033C
	v_pk_fma_f32 v[172:173], v[236:237], v[60:61], v[172:173]  // 0000000060B8: D3B040AC 1EB279EC
	v_pk_fma_f32 v[174:175], v[238:239], v[60:61], v[174:175]  // 0000000060C0: D3B040AE 1EBA79EE
	v_pk_fma_f32 v[188:189], v[252:253], v[60:61], v[188:189]  // 0000000060C8: D3B040BC 1EF279FC
	v_pk_fma_f32 v[190:191], v[254:255], v[60:61], v[190:191]  // 0000000060D0: D3B040BE 1EFA79FE
	s_add_u32 s56, 0x200, s76                                  // 0000000060D8: 80384CFF 00000200
	s_cmp_lt_u32 s56, s77                                      // 0000000060E0: BF0A4D38
	s_cselect_b32 s53, s53, 0                                  // 0000000060E4: 85358035
	s_cselect_b32 s3, s3, 0                                    // 0000000060E8: 85038003
	s_add_u32 s56, 0x200, s76                                  // 0000000060EC: 80384CFF 00000200
	s_cmp_lt_u32 s56, s77                                      // 0000000060F4: BF0A4D38
	s_cselect_b32 s54, s54, 0                                  // 0000000060F8: 85368036
	s_add_u32 s20, s53, s20                                    // 0000000060FC: 80141435
	s_addc_u32 s21, 0, s21                                     // 000000006100: 82151580
	s_add_u32 s28, s3, s28                                     // 000000006104: 801C1C03
	s_addc_u32 s29, 0, s29                                     // 000000006108: 821D1D80
	s_add_u32 s24, s54, s24                                    // 00000000610C: 80181836
	s_addc_u32 s25, 0, s25                                     // 000000006110: 82191980
	s_add_u32 s96, s94, s96                                    // 000000006114: 8060605E
	s_addc_u32 s97, 0, s97                                     // 000000006118: 82616180
	s_addk_i32 s76, 0x100                                      // 00000000611C: B74C0100
	s_cmp_lt_i32 s76, s77                                      // 000000006120: BF044D4C
	s_cbranch_scc0 label_0CCB                                  // 000000006124: BF840001
	s_branch label_03E2                                        // 000000006128: BF82F717

000000000000612c <label_0CCB>:
	s_mov_b32 s20, 0                                           // 00000000612C: BE940080
	s_cmp_lt_u32 s93, s62                                      // 000000006130: BF0A3E5D
	s_cselect_b32 s56, 0, 1                                    // 000000006134: 85388180
	s_lshl1_add_u32 s20, s20, s56                              // 000000006138: 97143814
	s_cmp_lt_u32 s92, s62                                      // 00000000613C: BF0A3E5C
	s_cselect_b32 s56, 0, 1                                    // 000000006140: 85388180
	s_lshl1_add_u32 s20, s20, s56                              // 000000006144: 97143814
	s_cmp_lt_u32 s91, s62                                      // 000000006148: BF0A3E5B
	s_cselect_b32 s56, 0, 1                                    // 00000000614C: 85388180
	s_lshl1_add_u32 s20, s20, s56                              // 000000006150: 97143814
	s_cmp_lt_u32 s90, s62                                      // 000000006154: BF0A3E5A
	s_cselect_b32 s56, 0, 1                                    // 000000006158: 85388180
	s_lshl1_add_u32 s20, s20, s56                              // 00000000615C: 97143814
	s_cmp_lt_u32 s89, s62                                      // 000000006160: BF0A3E59
	s_cselect_b32 s56, 0, 1                                    // 000000006164: 85388180
	s_lshl1_add_u32 s20, s20, s56                              // 000000006168: 97143814
	s_cmp_lt_u32 s88, s62                                      // 00000000616C: BF0A3E58
	s_cselect_b32 s56, 0, 1                                    // 000000006170: 85388180
	s_lshl1_add_u32 s20, s20, s56                              // 000000006174: 97143814
	s_cmp_lt_u32 s87, s62                                      // 000000006178: BF0A3E57
	s_cselect_b32 s56, 0, 1                                    // 00000000617C: 85388180
	s_lshl1_add_u32 s20, s20, s56                              // 000000006180: 97143814
	s_cmp_lt_u32 s86, s62                                      // 000000006184: BF0A3E56
	s_cselect_b32 s56, 0, 1                                    // 000000006188: 85388180
	s_lshl1_add_u32 s20, s20, s56                              // 00000000618C: 97143814
	s_cmp_lt_u32 s85, s62                                      // 000000006190: BF0A3E55
	s_cselect_b32 s56, 0, 1                                    // 000000006194: 85388180
	s_lshl1_add_u32 s20, s20, s56                              // 000000006198: 97143814
	s_cmp_lt_u32 s84, s62                                      // 00000000619C: BF0A3E54
	s_cselect_b32 s56, 0, 1                                    // 0000000061A0: 85388180
	s_lshl1_add_u32 s20, s20, s56                              // 0000000061A4: 97143814
	s_cmp_lt_u32 s83, s62                                      // 0000000061A8: BF0A3E53
	s_cselect_b32 s56, 0, 1                                    // 0000000061AC: 85388180
	s_lshl1_add_u32 s20, s20, s56                              // 0000000061B0: 97143814
	s_cmp_lt_u32 s82, s62                                      // 0000000061B4: BF0A3E52
	s_cselect_b32 s56, 0, 1                                    // 0000000061B8: 85388180
	s_lshl1_add_u32 s20, s20, s56                              // 0000000061BC: 97143814
	s_cmp_lt_u32 s81, s62                                      // 0000000061C0: BF0A3E51
	s_cselect_b32 s56, 0, 1                                    // 0000000061C4: 85388180
	s_lshl1_add_u32 s20, s20, s56                              // 0000000061C8: 97143814
	s_cmp_lt_u32 s80, s62                                      // 0000000061CC: BF0A3E50
	s_cselect_b32 s56, 0, 1                                    // 0000000061D0: 85388180
	s_lshl1_add_u32 s20, s20, s56                              // 0000000061D4: 97143814
	s_cmp_lt_u32 s79, s62                                      // 0000000061D8: BF0A3E4F
	s_cselect_b32 s56, 0, 1                                    // 0000000061DC: 85388180
	s_lshl1_add_u32 s20, s20, s56                              // 0000000061E0: 97143814
	s_cmp_lt_u32 s78, s62                                      // 0000000061E4: BF0A3E4E
	s_cselect_b32 s56, 0, 1                                    // 0000000061E8: 85388180
	s_lshl1_add_u32 s20, s20, s56                              // 0000000061EC: 97143814
	s_waitcnt vmcnt(12)                                        // 0000000061F0: BF8C0F7C
	buffer_load_dwordx4 a[0:3], v51, s[12:15], 0 offen         // 0000000061F4: E05C1000 80830033
	v_mul_f32_e64 v60, -v64, s6                                // 0000000061FC: D105003C 20000D40
	v_mul_f32_e64 v61, -v65, s6                                // 000000006204: D105003D 20000D41
	v_mul_f32_e64 v62, -v66, s6                                // 00000000620C: D105003E 20000D42
	v_mul_f32_e64 v63, -v67, s6                                // 000000006214: D105003F 20000D43
	v_exp_f32_e32 v60, v60                                     // 00000000621C: 7E78413C
	v_exp_f32_e32 v61, v61                                     // 000000006220: 7E7A413D
	v_exp_f32_e32 v62, v62                                     // 000000006224: 7E7C413E
	v_exp_f32_e32 v63, v63                                     // 000000006228: 7E7E413F
	buffer_load_dwordx4 a[4:7], v52, s[12:15], 0 offen         // 00000000622C: E05C1000 80830434
	v_add_f32_e64 v60, v60, 1.0                                // 000000006234: D101003C 0001E53C
	v_add_f32_e64 v61, v61, 1.0                                // 00000000623C: D101003D 0001E53D
	v_add_f32_e64 v62, v62, 1.0                                // 000000006244: D101003E 0001E53E
	v_add_f32_e64 v63, v63, 1.0                                // 00000000624C: D101003F 0001E53F
	v_rcp_f32_e32 v60, v60                                     // 000000006254: 7E78453C
	v_rcp_f32_e32 v61, v61                                     // 000000006258: 7E7A453D
	v_rcp_f32_e32 v62, v62                                     // 00000000625C: 7E7C453E
	v_rcp_f32_e32 v63, v63                                     // 000000006260: 7E7E453F
	v_mul_f32_e32 v64, v64, v60                                // 000000006264: 0A807940
	v_mul_f32_e32 v65, v65, v61                                // 000000006268: 0A827B41
	v_mul_f32_e32 v66, v66, v62                                // 00000000626C: 0A847D42
	v_mul_f32_e32 v67, v67, v63                                // 000000006270: 0A867F43
	v_mul_f32_e32 v64, v64, v128                               // 000000006274: 0A810140
	v_mul_f32_e32 v65, v65, v129                               // 000000006278: 0A830341
	v_mul_f32_e32 v66, v66, v130                               // 00000000627C: 0A850542
	v_mul_f32_e32 v67, v67, v131                               // 000000006280: 0A870743
	buffer_load_dwordx4 a[8:11], v53, s[12:15], 0 offen        // 000000006284: E05C1000 80830835
	v_mul_f32_e64 v60, -v68, s6                                // 00000000628C: D105003C 20000D44
	v_mul_f32_e64 v61, -v69, s6                                // 000000006294: D105003D 20000D45
	v_mul_f32_e64 v62, -v70, s6                                // 00000000629C: D105003E 20000D46
	v_mul_f32_e64 v63, -v71, s6                                // 0000000062A4: D105003F 20000D47
	v_exp_f32_e32 v60, v60                                     // 0000000062AC: 7E78413C
	v_exp_f32_e32 v61, v61                                     // 0000000062B0: 7E7A413D
	v_exp_f32_e32 v62, v62                                     // 0000000062B4: 7E7C413E
	v_exp_f32_e32 v63, v63                                     // 0000000062B8: 7E7E413F
	buffer_load_dwordx4 a[12:15], v54, s[12:15], 0 offen       // 0000000062BC: E05C1000 80830C36
	s_add_u32 s12, s74, s12                                    // 0000000062C4: 800C0C4A
	s_addc_u32 s13, 0, s13                                     // 0000000062C8: 820D0D80
	v_add_f32_e64 v60, v60, 1.0                                // 0000000062CC: D101003C 0001E53C
	v_add_f32_e64 v61, v61, 1.0                                // 0000000062D4: D101003D 0001E53D
	v_add_f32_e64 v62, v62, 1.0                                // 0000000062DC: D101003E 0001E53E
	v_add_f32_e64 v63, v63, 1.0                                // 0000000062E4: D101003F 0001E53F
	v_rcp_f32_e32 v60, v60                                     // 0000000062EC: 7E78453C
	v_rcp_f32_e32 v61, v61                                     // 0000000062F0: 7E7A453D
	v_rcp_f32_e32 v62, v62                                     // 0000000062F4: 7E7C453E
	v_rcp_f32_e32 v63, v63                                     // 0000000062F8: 7E7E453F
	v_mul_f32_e32 v68, v68, v60                                // 0000000062FC: 0A887944
	v_mul_f32_e32 v69, v69, v61                                // 000000006300: 0A8A7B45
	v_mul_f32_e32 v70, v70, v62                                // 000000006304: 0A8C7D46
	v_mul_f32_e32 v71, v71, v63                                // 000000006308: 0A8E7F47
	v_mul_f32_e32 v68, v68, v132                               // 00000000630C: 0A890944
	v_mul_f32_e32 v69, v69, v133                               // 000000006310: 0A8B0B45
	v_mul_f32_e32 v70, v70, v134                               // 000000006314: 0A8D0D46
	v_mul_f32_e32 v71, v71, v135                               // 000000006318: 0A8F0F47
	s_waitcnt vmcnt(12)                                        // 00000000631C: BF8C0F7C
	buffer_load_dwordx4 a[16:19], v51, s[12:15], 0 offen       // 000000006320: E05C1000 80831033
	v_mul_f32_e64 v60, -v72, s6                                // 000000006328: D105003C 20000D48
	v_mul_f32_e64 v61, -v73, s6                                // 000000006330: D105003D 20000D49
	v_mul_f32_e64 v62, -v74, s6                                // 000000006338: D105003E 20000D4A
	v_mul_f32_e64 v63, -v75, s6                                // 000000006340: D105003F 20000D4B
	v_exp_f32_e32 v60, v60                                     // 000000006348: 7E78413C
	v_exp_f32_e32 v61, v61                                     // 00000000634C: 7E7A413D
	v_exp_f32_e32 v62, v62                                     // 000000006350: 7E7C413E
	v_exp_f32_e32 v63, v63                                     // 000000006354: 7E7E413F
	buffer_load_dwordx4 a[20:23], v52, s[12:15], 0 offen       // 000000006358: E05C1000 80831434
	v_add_f32_e64 v60, v60, 1.0                                // 000000006360: D101003C 0001E53C
	v_add_f32_e64 v61, v61, 1.0                                // 000000006368: D101003D 0001E53D
	v_add_f32_e64 v62, v62, 1.0                                // 000000006370: D101003E 0001E53E
	v_add_f32_e64 v63, v63, 1.0                                // 000000006378: D101003F 0001E53F
	v_rcp_f32_e32 v60, v60                                     // 000000006380: 7E78453C
	v_rcp_f32_e32 v61, v61                                     // 000000006384: 7E7A453D
	v_rcp_f32_e32 v62, v62                                     // 000000006388: 7E7C453E
	v_rcp_f32_e32 v63, v63                                     // 00000000638C: 7E7E453F
	v_mul_f32_e32 v72, v72, v60                                // 000000006390: 0A907948
	v_mul_f32_e32 v73, v73, v61                                // 000000006394: 0A927B49
	v_mul_f32_e32 v74, v74, v62                                // 000000006398: 0A947D4A
	v_mul_f32_e32 v75, v75, v63                                // 00000000639C: 0A967F4B
	v_mul_f32_e32 v72, v72, v136                               // 0000000063A0: 0A911148
	v_mul_f32_e32 v73, v73, v137                               // 0000000063A4: 0A931349
	v_mul_f32_e32 v74, v74, v138                               // 0000000063A8: 0A95154A
	v_mul_f32_e32 v75, v75, v139                               // 0000000063AC: 0A97174B
	buffer_load_dwordx4 a[24:27], v53, s[12:15], 0 offen       // 0000000063B0: E05C1000 80831835
	v_mul_f32_e64 v60, -v76, s6                                // 0000000063B8: D105003C 20000D4C
	v_mul_f32_e64 v61, -v77, s6                                // 0000000063C0: D105003D 20000D4D
	v_mul_f32_e64 v62, -v78, s6                                // 0000000063C8: D105003E 20000D4E
	v_mul_f32_e64 v63, -v79, s6                                // 0000000063D0: D105003F 20000D4F
	v_exp_f32_e32 v60, v60                                     // 0000000063D8: 7E78413C
	v_exp_f32_e32 v61, v61                                     // 0000000063DC: 7E7A413D
	v_exp_f32_e32 v62, v62                                     // 0000000063E0: 7E7C413E
	v_exp_f32_e32 v63, v63                                     // 0000000063E4: 7E7E413F
	buffer_load_dwordx4 a[28:31], v54, s[12:15], 0 offen       // 0000000063E8: E05C1000 80831C36
	s_add_u32 s12, s74, s12                                    // 0000000063F0: 800C0C4A
	s_addc_u32 s13, 0, s13                                     // 0000000063F4: 820D0D80
	v_add_f32_e64 v60, v60, 1.0                                // 0000000063F8: D101003C 0001E53C
	v_add_f32_e64 v61, v61, 1.0                                // 000000006400: D101003D 0001E53D
	v_add_f32_e64 v62, v62, 1.0                                // 000000006408: D101003E 0001E53E
	v_add_f32_e64 v63, v63, 1.0                                // 000000006410: D101003F 0001E53F
	v_rcp_f32_e32 v60, v60                                     // 000000006418: 7E78453C
	v_rcp_f32_e32 v61, v61                                     // 00000000641C: 7E7A453D
	v_rcp_f32_e32 v62, v62                                     // 000000006420: 7E7C453E
	v_rcp_f32_e32 v63, v63                                     // 000000006424: 7E7E453F
	v_mul_f32_e32 v76, v76, v60                                // 000000006428: 0A98794C
	v_mul_f32_e32 v77, v77, v61                                // 00000000642C: 0A9A7B4D
	v_mul_f32_e32 v78, v78, v62                                // 000000006430: 0A9C7D4E
	v_mul_f32_e32 v79, v79, v63                                // 000000006434: 0A9E7F4F
	v_mul_f32_e32 v76, v76, v140                               // 000000006438: 0A99194C
	v_mul_f32_e32 v77, v77, v141                               // 00000000643C: 0A9B1B4D
	v_mul_f32_e32 v78, v78, v142                               // 000000006440: 0A9D1D4E
	v_mul_f32_e32 v79, v79, v143                               // 000000006444: 0A9F1F4F
	s_waitcnt vmcnt(12)                                        // 000000006448: BF8C0F7C
	buffer_load_dwordx4 a[32:35], v51, s[12:15], 0 offen       // 00000000644C: E05C1000 80832033
	v_mul_f32_e64 v60, -v80, s6                                // 000000006454: D105003C 20000D50
	v_mul_f32_e64 v61, -v81, s6                                // 00000000645C: D105003D 20000D51
	v_mul_f32_e64 v62, -v82, s6                                // 000000006464: D105003E 20000D52
	v_mul_f32_e64 v63, -v83, s6                                // 00000000646C: D105003F 20000D53
	v_exp_f32_e32 v60, v60                                     // 000000006474: 7E78413C
	v_exp_f32_e32 v61, v61                                     // 000000006478: 7E7A413D
	v_exp_f32_e32 v62, v62                                     // 00000000647C: 7E7C413E
	v_exp_f32_e32 v63, v63                                     // 000000006480: 7E7E413F
	buffer_load_dwordx4 a[36:39], v52, s[12:15], 0 offen       // 000000006484: E05C1000 80832434
	v_add_f32_e64 v60, v60, 1.0                                // 00000000648C: D101003C 0001E53C
	v_add_f32_e64 v61, v61, 1.0                                // 000000006494: D101003D 0001E53D
	v_add_f32_e64 v62, v62, 1.0                                // 00000000649C: D101003E 0001E53E
	v_add_f32_e64 v63, v63, 1.0                                // 0000000064A4: D101003F 0001E53F
	v_rcp_f32_e32 v60, v60                                     // 0000000064AC: 7E78453C
	v_rcp_f32_e32 v61, v61                                     // 0000000064B0: 7E7A453D
	v_rcp_f32_e32 v62, v62                                     // 0000000064B4: 7E7C453E
	v_rcp_f32_e32 v63, v63                                     // 0000000064B8: 7E7E453F
	v_mul_f32_e32 v80, v80, v60                                // 0000000064BC: 0AA07950
	v_mul_f32_e32 v81, v81, v61                                // 0000000064C0: 0AA27B51
	v_mul_f32_e32 v82, v82, v62                                // 0000000064C4: 0AA47D52
	v_mul_f32_e32 v83, v83, v63                                // 0000000064C8: 0AA67F53
	v_mul_f32_e32 v80, v80, v144                               // 0000000064CC: 0AA12150
	v_mul_f32_e32 v81, v81, v145                               // 0000000064D0: 0AA32351
	v_mul_f32_e32 v82, v82, v146                               // 0000000064D4: 0AA52552
	v_mul_f32_e32 v83, v83, v147                               // 0000000064D8: 0AA72753
	buffer_load_dwordx4 a[40:43], v53, s[12:15], 0 offen       // 0000000064DC: E05C1000 80832835
	v_mul_f32_e64 v60, -v84, s6                                // 0000000064E4: D105003C 20000D54
	v_mul_f32_e64 v61, -v85, s6                                // 0000000064EC: D105003D 20000D55
	v_mul_f32_e64 v62, -v86, s6                                // 0000000064F4: D105003E 20000D56
	v_mul_f32_e64 v63, -v87, s6                                // 0000000064FC: D105003F 20000D57
	v_exp_f32_e32 v60, v60                                     // 000000006504: 7E78413C
	v_exp_f32_e32 v61, v61                                     // 000000006508: 7E7A413D
	v_exp_f32_e32 v62, v62                                     // 00000000650C: 7E7C413E
	v_exp_f32_e32 v63, v63                                     // 000000006510: 7E7E413F
	buffer_load_dwordx4 a[44:47], v54, s[12:15], 0 offen       // 000000006514: E05C1000 80832C36
	s_add_u32 s12, s74, s12                                    // 00000000651C: 800C0C4A
	s_addc_u32 s13, 0, s13                                     // 000000006520: 820D0D80
	v_add_f32_e64 v60, v60, 1.0                                // 000000006524: D101003C 0001E53C
	v_add_f32_e64 v61, v61, 1.0                                // 00000000652C: D101003D 0001E53D
	v_add_f32_e64 v62, v62, 1.0                                // 000000006534: D101003E 0001E53E
	v_add_f32_e64 v63, v63, 1.0                                // 00000000653C: D101003F 0001E53F
	v_rcp_f32_e32 v60, v60                                     // 000000006544: 7E78453C
	v_rcp_f32_e32 v61, v61                                     // 000000006548: 7E7A453D
	v_rcp_f32_e32 v62, v62                                     // 00000000654C: 7E7C453E
	v_rcp_f32_e32 v63, v63                                     // 000000006550: 7E7E453F
	v_mul_f32_e32 v84, v84, v60                                // 000000006554: 0AA87954
	v_mul_f32_e32 v85, v85, v61                                // 000000006558: 0AAA7B55
	v_mul_f32_e32 v86, v86, v62                                // 00000000655C: 0AAC7D56
	v_mul_f32_e32 v87, v87, v63                                // 000000006560: 0AAE7F57
	v_mul_f32_e32 v84, v84, v148                               // 000000006564: 0AA92954
	v_mul_f32_e32 v85, v85, v149                               // 000000006568: 0AAB2B55
	v_mul_f32_e32 v86, v86, v150                               // 00000000656C: 0AAD2D56
	v_mul_f32_e32 v87, v87, v151                               // 000000006570: 0AAF2F57
	s_waitcnt vmcnt(12)                                        // 000000006574: BF8C0F7C
	buffer_load_dwordx4 a[48:51], v51, s[12:15], 0 offen       // 000000006578: E05C1000 80833033
	v_mul_f32_e64 v60, -v88, s6                                // 000000006580: D105003C 20000D58
	v_mul_f32_e64 v61, -v89, s6                                // 000000006588: D105003D 20000D59
	v_mul_f32_e64 v62, -v90, s6                                // 000000006590: D105003E 20000D5A
	v_mul_f32_e64 v63, -v91, s6                                // 000000006598: D105003F 20000D5B
	v_exp_f32_e32 v60, v60                                     // 0000000065A0: 7E78413C
	v_exp_f32_e32 v61, v61                                     // 0000000065A4: 7E7A413D
	v_exp_f32_e32 v62, v62                                     // 0000000065A8: 7E7C413E
	v_exp_f32_e32 v63, v63                                     // 0000000065AC: 7E7E413F
	buffer_load_dwordx4 a[52:55], v52, s[12:15], 0 offen       // 0000000065B0: E05C1000 80833434
	v_add_f32_e64 v60, v60, 1.0                                // 0000000065B8: D101003C 0001E53C
	v_add_f32_e64 v61, v61, 1.0                                // 0000000065C0: D101003D 0001E53D
	v_add_f32_e64 v62, v62, 1.0                                // 0000000065C8: D101003E 0001E53E
	v_add_f32_e64 v63, v63, 1.0                                // 0000000065D0: D101003F 0001E53F
	v_rcp_f32_e32 v60, v60                                     // 0000000065D8: 7E78453C
	v_rcp_f32_e32 v61, v61                                     // 0000000065DC: 7E7A453D
	v_rcp_f32_e32 v62, v62                                     // 0000000065E0: 7E7C453E
	v_rcp_f32_e32 v63, v63                                     // 0000000065E4: 7E7E453F
	v_mul_f32_e32 v88, v88, v60                                // 0000000065E8: 0AB07958
	v_mul_f32_e32 v89, v89, v61                                // 0000000065EC: 0AB27B59
	v_mul_f32_e32 v90, v90, v62                                // 0000000065F0: 0AB47D5A
	v_mul_f32_e32 v91, v91, v63                                // 0000000065F4: 0AB67F5B
	v_mul_f32_e32 v88, v88, v152                               // 0000000065F8: 0AB13158
	v_mul_f32_e32 v89, v89, v153                               // 0000000065FC: 0AB33359
	v_mul_f32_e32 v90, v90, v154                               // 000000006600: 0AB5355A
	v_mul_f32_e32 v91, v91, v155                               // 000000006604: 0AB7375B
	buffer_load_dwordx4 a[56:59], v53, s[12:15], 0 offen       // 000000006608: E05C1000 80833835
	v_mul_f32_e64 v60, -v92, s6                                // 000000006610: D105003C 20000D5C
	v_mul_f32_e64 v61, -v93, s6                                // 000000006618: D105003D 20000D5D
	v_mul_f32_e64 v62, -v94, s6                                // 000000006620: D105003E 20000D5E
	v_mul_f32_e64 v63, -v95, s6                                // 000000006628: D105003F 20000D5F
	v_exp_f32_e32 v60, v60                                     // 000000006630: 7E78413C
	v_exp_f32_e32 v61, v61                                     // 000000006634: 7E7A413D
	v_exp_f32_e32 v62, v62                                     // 000000006638: 7E7C413E
	v_exp_f32_e32 v63, v63                                     // 00000000663C: 7E7E413F
	buffer_load_dwordx4 a[60:63], v54, s[12:15], 0 offen       // 000000006640: E05C1000 80833C36
	v_add_f32_e64 v60, v60, 1.0                                // 000000006648: D101003C 0001E53C
	v_add_f32_e64 v61, v61, 1.0                                // 000000006650: D101003D 0001E53D
	v_add_f32_e64 v62, v62, 1.0                                // 000000006658: D101003E 0001E53E
	v_add_f32_e64 v63, v63, 1.0                                // 000000006660: D101003F 0001E53F
	v_rcp_f32_e32 v60, v60                                     // 000000006668: 7E78453C
	v_rcp_f32_e32 v61, v61                                     // 00000000666C: 7E7A453D
	v_rcp_f32_e32 v62, v62                                     // 000000006670: 7E7C453E
	v_rcp_f32_e32 v63, v63                                     // 000000006674: 7E7E453F
	v_mul_f32_e32 v92, v92, v60                                // 000000006678: 0AB8795C
	v_mul_f32_e32 v93, v93, v61                                // 00000000667C: 0ABA7B5D
	v_mul_f32_e32 v94, v94, v62                                // 000000006680: 0ABC7D5E
	v_mul_f32_e32 v95, v95, v63                                // 000000006684: 0ABE7F5F
	v_mul_f32_e32 v92, v92, v156                               // 000000006688: 0AB9395C
	v_mul_f32_e32 v93, v93, v157                               // 00000000668C: 0ABB3B5D
	v_mul_f32_e32 v94, v94, v158                               // 000000006690: 0ABD3D5E
	v_mul_f32_e32 v95, v95, v159                               // 000000006694: 0ABF3F5F
	s_waitcnt vmcnt(12)                                        // 000000006698: BF8C0F7C
	v_mul_f32_e64 v60, -v96, s6                                // 00000000669C: D105003C 20000D60
	v_mul_f32_e64 v61, -v97, s6                                // 0000000066A4: D105003D 20000D61
	v_mul_f32_e64 v62, -v98, s6                                // 0000000066AC: D105003E 20000D62
	v_mul_f32_e64 v63, -v99, s6                                // 0000000066B4: D105003F 20000D63
	v_exp_f32_e32 v60, v60                                     // 0000000066BC: 7E78413C
	v_exp_f32_e32 v61, v61                                     // 0000000066C0: 7E7A413D
	v_exp_f32_e32 v62, v62                                     // 0000000066C4: 7E7C413E
	v_exp_f32_e32 v63, v63                                     // 0000000066C8: 7E7E413F
	v_add_f32_e64 v60, v60, 1.0                                // 0000000066CC: D101003C 0001E53C
	v_add_f32_e64 v61, v61, 1.0                                // 0000000066D4: D101003D 0001E53D
	v_add_f32_e64 v62, v62, 1.0                                // 0000000066DC: D101003E 0001E53E
	v_add_f32_e64 v63, v63, 1.0                                // 0000000066E4: D101003F 0001E53F
	v_rcp_f32_e32 v60, v60                                     // 0000000066EC: 7E78453C
	v_rcp_f32_e32 v61, v61                                     // 0000000066F0: 7E7A453D
	v_rcp_f32_e32 v62, v62                                     // 0000000066F4: 7E7C453E
	v_rcp_f32_e32 v63, v63                                     // 0000000066F8: 7E7E453F
	v_mul_f32_e32 v96, v96, v60                                // 0000000066FC: 0AC07960
	v_mul_f32_e32 v97, v97, v61                                // 000000006700: 0AC27B61
	v_mul_f32_e32 v98, v98, v62                                // 000000006704: 0AC47D62
	v_mul_f32_e32 v99, v99, v63                                // 000000006708: 0AC67F63
	v_mul_f32_e32 v96, v96, v160                               // 00000000670C: 0AC14160
	v_mul_f32_e32 v97, v97, v161                               // 000000006710: 0AC34361
	v_mul_f32_e32 v98, v98, v162                               // 000000006714: 0AC54562
	v_mul_f32_e32 v99, v99, v163                               // 000000006718: 0AC74763
	v_mul_f32_e64 v60, -v100, s6                               // 00000000671C: D105003C 20000D64
	v_mul_f32_e64 v61, -v101, s6                               // 000000006724: D105003D 20000D65
	v_mul_f32_e64 v62, -v102, s6                               // 00000000672C: D105003E 20000D66
	v_mul_f32_e64 v63, -v103, s6                               // 000000006734: D105003F 20000D67
	v_exp_f32_e32 v60, v60                                     // 00000000673C: 7E78413C
	v_exp_f32_e32 v61, v61                                     // 000000006740: 7E7A413D
	v_exp_f32_e32 v62, v62                                     // 000000006744: 7E7C413E
	v_exp_f32_e32 v63, v63                                     // 000000006748: 7E7E413F
	v_add_f32_e64 v60, v60, 1.0                                // 00000000674C: D101003C 0001E53C
	v_add_f32_e64 v61, v61, 1.0                                // 000000006754: D101003D 0001E53D
	v_add_f32_e64 v62, v62, 1.0                                // 00000000675C: D101003E 0001E53E
	v_add_f32_e64 v63, v63, 1.0                                // 000000006764: D101003F 0001E53F
	v_rcp_f32_e32 v60, v60                                     // 00000000676C: 7E78453C
	v_rcp_f32_e32 v61, v61                                     // 000000006770: 7E7A453D
	v_rcp_f32_e32 v62, v62                                     // 000000006774: 7E7C453E
	v_rcp_f32_e32 v63, v63                                     // 000000006778: 7E7E453F
	v_mul_f32_e32 v100, v100, v60                              // 00000000677C: 0AC87964
	v_mul_f32_e32 v101, v101, v61                              // 000000006780: 0ACA7B65
	v_mul_f32_e32 v102, v102, v62                              // 000000006784: 0ACC7D66
	v_mul_f32_e32 v103, v103, v63                              // 000000006788: 0ACE7F67
	v_mul_f32_e32 v100, v100, v164                             // 00000000678C: 0AC94964
	v_mul_f32_e32 v101, v101, v165                             // 000000006790: 0ACB4B65
	v_mul_f32_e32 v102, v102, v166                             // 000000006794: 0ACD4D66
	v_mul_f32_e32 v103, v103, v167                             // 000000006798: 0ACF4F67
	s_waitcnt vmcnt(12)                                        // 00000000679C: BF8C0F7C
	v_mul_f32_e64 v60, -v104, s6                               // 0000000067A0: D105003C 20000D68
	v_mul_f32_e64 v61, -v105, s6                               // 0000000067A8: D105003D 20000D69
	v_mul_f32_e64 v62, -v106, s6                               // 0000000067B0: D105003E 20000D6A
	v_mul_f32_e64 v63, -v107, s6                               // 0000000067B8: D105003F 20000D6B
	v_exp_f32_e32 v60, v60                                     // 0000000067C0: 7E78413C
	v_exp_f32_e32 v61, v61                                     // 0000000067C4: 7E7A413D
	v_exp_f32_e32 v62, v62                                     // 0000000067C8: 7E7C413E
	v_exp_f32_e32 v63, v63                                     // 0000000067CC: 7E7E413F
	v_add_f32_e64 v60, v60, 1.0                                // 0000000067D0: D101003C 0001E53C
	v_add_f32_e64 v61, v61, 1.0                                // 0000000067D8: D101003D 0001E53D
	v_add_f32_e64 v62, v62, 1.0                                // 0000000067E0: D101003E 0001E53E
	v_add_f32_e64 v63, v63, 1.0                                // 0000000067E8: D101003F 0001E53F
	v_rcp_f32_e32 v60, v60                                     // 0000000067F0: 7E78453C
	v_rcp_f32_e32 v61, v61                                     // 0000000067F4: 7E7A453D
	v_rcp_f32_e32 v62, v62                                     // 0000000067F8: 7E7C453E
	v_rcp_f32_e32 v63, v63                                     // 0000000067FC: 7E7E453F
	v_mul_f32_e32 v104, v104, v60                              // 000000006800: 0AD07968
	v_mul_f32_e32 v105, v105, v61                              // 000000006804: 0AD27B69
	v_mul_f32_e32 v106, v106, v62                              // 000000006808: 0AD47D6A
	v_mul_f32_e32 v107, v107, v63                              // 00000000680C: 0AD67F6B
	v_mul_f32_e32 v104, v104, v168                             // 000000006810: 0AD15168
	v_mul_f32_e32 v105, v105, v169                             // 000000006814: 0AD35369
	v_mul_f32_e32 v106, v106, v170                             // 000000006818: 0AD5556A
	v_mul_f32_e32 v107, v107, v171                             // 00000000681C: 0AD7576B
	v_mul_f32_e64 v60, -v108, s6                               // 000000006820: D105003C 20000D6C
	v_mul_f32_e64 v61, -v109, s6                               // 000000006828: D105003D 20000D6D
	v_mul_f32_e64 v62, -v110, s6                               // 000000006830: D105003E 20000D6E
	v_mul_f32_e64 v63, -v111, s6                               // 000000006838: D105003F 20000D6F
	v_exp_f32_e32 v60, v60                                     // 000000006840: 7E78413C
	v_exp_f32_e32 v61, v61                                     // 000000006844: 7E7A413D
	v_exp_f32_e32 v62, v62                                     // 000000006848: 7E7C413E
	v_exp_f32_e32 v63, v63                                     // 00000000684C: 7E7E413F
	v_add_f32_e64 v60, v60, 1.0                                // 000000006850: D101003C 0001E53C
	v_add_f32_e64 v61, v61, 1.0                                // 000000006858: D101003D 0001E53D
	v_add_f32_e64 v62, v62, 1.0                                // 000000006860: D101003E 0001E53E
	v_add_f32_e64 v63, v63, 1.0                                // 000000006868: D101003F 0001E53F
	v_rcp_f32_e32 v60, v60                                     // 000000006870: 7E78453C
	v_rcp_f32_e32 v61, v61                                     // 000000006874: 7E7A453D
	v_rcp_f32_e32 v62, v62                                     // 000000006878: 7E7C453E
	v_rcp_f32_e32 v63, v63                                     // 00000000687C: 7E7E453F
	v_mul_f32_e32 v108, v108, v60                              // 000000006880: 0AD8796C
	v_mul_f32_e32 v109, v109, v61                              // 000000006884: 0ADA7B6D
	v_mul_f32_e32 v110, v110, v62                              // 000000006888: 0ADC7D6E
	v_mul_f32_e32 v111, v111, v63                              // 00000000688C: 0ADE7F6F
	v_mul_f32_e32 v108, v108, v172                             // 000000006890: 0AD9596C
	v_mul_f32_e32 v109, v109, v173                             // 000000006894: 0ADB5B6D
	v_mul_f32_e32 v110, v110, v174                             // 000000006898: 0ADD5D6E
	v_mul_f32_e32 v111, v111, v175                             // 00000000689C: 0ADF5F6F
	s_waitcnt vmcnt(12)                                        // 0000000068A0: BF8C0F7C
	v_mul_f32_e64 v60, -v112, s6                               // 0000000068A4: D105003C 20000D70
	v_mul_f32_e64 v61, -v113, s6                               // 0000000068AC: D105003D 20000D71
	v_mul_f32_e64 v62, -v114, s6                               // 0000000068B4: D105003E 20000D72
	v_mul_f32_e64 v63, -v115, s6                               // 0000000068BC: D105003F 20000D73
	v_exp_f32_e32 v60, v60                                     // 0000000068C4: 7E78413C
	v_exp_f32_e32 v61, v61                                     // 0000000068C8: 7E7A413D
	v_exp_f32_e32 v62, v62                                     // 0000000068CC: 7E7C413E
	v_exp_f32_e32 v63, v63                                     // 0000000068D0: 7E7E413F
	v_add_f32_e64 v60, v60, 1.0                                // 0000000068D4: D101003C 0001E53C
	v_add_f32_e64 v61, v61, 1.0                                // 0000000068DC: D101003D 0001E53D
	v_add_f32_e64 v62, v62, 1.0                                // 0000000068E4: D101003E 0001E53E
	v_add_f32_e64 v63, v63, 1.0                                // 0000000068EC: D101003F 0001E53F
	v_rcp_f32_e32 v60, v60                                     // 0000000068F4: 7E78453C
	v_rcp_f32_e32 v61, v61                                     // 0000000068F8: 7E7A453D
	v_rcp_f32_e32 v62, v62                                     // 0000000068FC: 7E7C453E
	v_rcp_f32_e32 v63, v63                                     // 000000006900: 7E7E453F
	v_mul_f32_e32 v112, v112, v60                              // 000000006904: 0AE07970
	v_mul_f32_e32 v113, v113, v61                              // 000000006908: 0AE27B71
	v_mul_f32_e32 v114, v114, v62                              // 00000000690C: 0AE47D72
	v_mul_f32_e32 v115, v115, v63                              // 000000006910: 0AE67F73
	v_mul_f32_e32 v112, v112, v176                             // 000000006914: 0AE16170
	v_mul_f32_e32 v113, v113, v177                             // 000000006918: 0AE36371
	v_mul_f32_e32 v114, v114, v178                             // 00000000691C: 0AE56572
	v_mul_f32_e32 v115, v115, v179                             // 000000006920: 0AE76773
	v_mul_f32_e64 v60, -v116, s6                               // 000000006924: D105003C 20000D74
	v_mul_f32_e64 v61, -v117, s6                               // 00000000692C: D105003D 20000D75
	v_mul_f32_e64 v62, -v118, s6                               // 000000006934: D105003E 20000D76
	v_mul_f32_e64 v63, -v119, s6                               // 00000000693C: D105003F 20000D77
	v_exp_f32_e32 v60, v60                                     // 000000006944: 7E78413C
	v_exp_f32_e32 v61, v61                                     // 000000006948: 7E7A413D
	v_exp_f32_e32 v62, v62                                     // 00000000694C: 7E7C413E
	v_exp_f32_e32 v63, v63                                     // 000000006950: 7E7E413F
	v_add_f32_e64 v60, v60, 1.0                                // 000000006954: D101003C 0001E53C
	v_add_f32_e64 v61, v61, 1.0                                // 00000000695C: D101003D 0001E53D
	v_add_f32_e64 v62, v62, 1.0                                // 000000006964: D101003E 0001E53E
	v_add_f32_e64 v63, v63, 1.0                                // 00000000696C: D101003F 0001E53F
	v_rcp_f32_e32 v60, v60                                     // 000000006974: 7E78453C
	v_rcp_f32_e32 v61, v61                                     // 000000006978: 7E7A453D
	v_rcp_f32_e32 v62, v62                                     // 00000000697C: 7E7C453E
	v_rcp_f32_e32 v63, v63                                     // 000000006980: 7E7E453F
	v_mul_f32_e32 v116, v116, v60                              // 000000006984: 0AE87974
	v_mul_f32_e32 v117, v117, v61                              // 000000006988: 0AEA7B75
	v_mul_f32_e32 v118, v118, v62                              // 00000000698C: 0AEC7D76
	v_mul_f32_e32 v119, v119, v63                              // 000000006990: 0AEE7F77
	v_mul_f32_e32 v116, v116, v180                             // 000000006994: 0AE96974
	v_mul_f32_e32 v117, v117, v181                             // 000000006998: 0AEB6B75
	v_mul_f32_e32 v118, v118, v182                             // 00000000699C: 0AED6D76
	v_mul_f32_e32 v119, v119, v183                             // 0000000069A0: 0AEF6F77
	s_waitcnt vmcnt(12)                                        // 0000000069A4: BF8C0F7C
	v_mul_f32_e64 v60, -v120, s6                               // 0000000069A8: D105003C 20000D78
	v_mul_f32_e64 v61, -v121, s6                               // 0000000069B0: D105003D 20000D79
	v_mul_f32_e64 v62, -v122, s6                               // 0000000069B8: D105003E 20000D7A
	v_mul_f32_e64 v63, -v123, s6                               // 0000000069C0: D105003F 20000D7B
	v_exp_f32_e32 v60, v60                                     // 0000000069C8: 7E78413C
	v_exp_f32_e32 v61, v61                                     // 0000000069CC: 7E7A413D
	v_exp_f32_e32 v62, v62                                     // 0000000069D0: 7E7C413E
	v_exp_f32_e32 v63, v63                                     // 0000000069D4: 7E7E413F
	v_add_f32_e64 v60, v60, 1.0                                // 0000000069D8: D101003C 0001E53C
	v_add_f32_e64 v61, v61, 1.0                                // 0000000069E0: D101003D 0001E53D
	v_add_f32_e64 v62, v62, 1.0                                // 0000000069E8: D101003E 0001E53E
	v_add_f32_e64 v63, v63, 1.0                                // 0000000069F0: D101003F 0001E53F
	v_rcp_f32_e32 v60, v60                                     // 0000000069F8: 7E78453C
	v_rcp_f32_e32 v61, v61                                     // 0000000069FC: 7E7A453D
	v_rcp_f32_e32 v62, v62                                     // 000000006A00: 7E7C453E
	v_rcp_f32_e32 v63, v63                                     // 000000006A04: 7E7E453F
	v_mul_f32_e32 v120, v120, v60                              // 000000006A08: 0AF07978
	v_mul_f32_e32 v121, v121, v61                              // 000000006A0C: 0AF27B79
	v_mul_f32_e32 v122, v122, v62                              // 000000006A10: 0AF47D7A
	v_mul_f32_e32 v123, v123, v63                              // 000000006A14: 0AF67F7B
	v_mul_f32_e32 v120, v120, v184                             // 000000006A18: 0AF17178
	v_mul_f32_e32 v121, v121, v185                             // 000000006A1C: 0AF37379
	v_mul_f32_e32 v122, v122, v186                             // 000000006A20: 0AF5757A
	v_mul_f32_e32 v123, v123, v187                             // 000000006A24: 0AF7777B
	v_mul_f32_e64 v60, -v124, s6                               // 000000006A28: D105003C 20000D7C
	v_mul_f32_e64 v61, -v125, s6                               // 000000006A30: D105003D 20000D7D
	v_mul_f32_e64 v62, -v126, s6                               // 000000006A38: D105003E 20000D7E
	v_mul_f32_e64 v63, -v127, s6                               // 000000006A40: D105003F 20000D7F
	v_exp_f32_e32 v60, v60                                     // 000000006A48: 7E78413C
	v_exp_f32_e32 v61, v61                                     // 000000006A4C: 7E7A413D
	v_exp_f32_e32 v62, v62                                     // 000000006A50: 7E7C413E
	v_exp_f32_e32 v63, v63                                     // 000000006A54: 7E7E413F
	v_add_f32_e64 v60, v60, 1.0                                // 000000006A58: D101003C 0001E53C
	v_add_f32_e64 v61, v61, 1.0                                // 000000006A60: D101003D 0001E53D
	v_add_f32_e64 v62, v62, 1.0                                // 000000006A68: D101003E 0001E53E
	v_add_f32_e64 v63, v63, 1.0                                // 000000006A70: D101003F 0001E53F
	v_rcp_f32_e32 v60, v60                                     // 000000006A78: 7E78453C
	v_rcp_f32_e32 v61, v61                                     // 000000006A7C: 7E7A453D
	v_rcp_f32_e32 v62, v62                                     // 000000006A80: 7E7C453E
	v_rcp_f32_e32 v63, v63                                     // 000000006A84: 7E7E453F
	v_mul_f32_e32 v124, v124, v60                              // 000000006A88: 0AF8797C
	v_mul_f32_e32 v125, v125, v61                              // 000000006A8C: 0AFA7B7D
	v_mul_f32_e32 v126, v126, v62                              // 000000006A90: 0AFC7D7E
	v_mul_f32_e32 v127, v127, v63                              // 000000006A94: 0AFE7F7F
	v_mul_f32_e32 v124, v124, v188                             // 000000006A98: 0AF9797C
	v_mul_f32_e32 v125, v125, v189                             // 000000006A9C: 0AFB7B7D
	v_mul_f32_e32 v126, v126, v190                             // 000000006AA0: 0AFD7D7E
	v_mul_f32_e32 v127, v127, v191                             // 000000006AA4: 0AFF7F7F
	buffer_load_dword v37, v8, s[16:19], 0 offen               // 000000006AA8: E0501000 80042508
	v_mov_b32_e32 v192, 0x358637bd                             // 000000006AB0: 7F8002FF 358637BD
	v_mov_b32_e32 v193, 0x358637bd                             // 000000006AB8: 7F8202FF 358637BD
	v_mov_b32_e32 v194, 0x358637bd                             // 000000006AC0: 7F8402FF 358637BD
	v_mov_b32_e32 v195, 0x358637bd                             // 000000006AC8: 7F8602FF 358637BD
	v_max3_f32 v192, |v64|, |v65|, v192                        // 000000006AD0: D1D303C0 07028340
	v_max3_f32 v192, |v66|, |v67|, v192                        // 000000006AD8: D1D303C0 07028742
	v_max3_f32 v193, |v68|, |v69|, v193                        // 000000006AE0: D1D303C1 07068B44
	v_max3_f32 v193, |v70|, |v71|, v193                        // 000000006AE8: D1D303C1 07068F46
	v_max3_f32 v194, |v72|, |v73|, v194                        // 000000006AF0: D1D303C2 070A9348
	v_max3_f32 v194, |v74|, |v75|, v194                        // 000000006AF8: D1D303C2 070A974A
	v_max3_f32 v195, |v76|, |v77|, v195                        // 000000006B00: D1D303C3 070E9B4C
	v_max3_f32 v195, |v78|, |v79|, v195                        // 000000006B08: D1D303C3 070E9F4E
	v_max3_f32 v192, |v80|, |v81|, v192                        // 000000006B10: D1D303C0 0702A350
	v_max3_f32 v192, |v82|, |v83|, v192                        // 000000006B18: D1D303C0 0702A752
	v_max3_f32 v193, |v84|, |v85|, v193                        // 000000006B20: D1D303C1 0706AB54
	v_max3_f32 v193, |v86|, |v87|, v193                        // 000000006B28: D1D303C1 0706AF56
	v_max3_f32 v194, |v88|, |v89|, v194                        // 000000006B30: D1D303C2 070AB358
	v_max3_f32 v194, |v90|, |v91|, v194                        // 000000006B38: D1D303C2 070AB75A
	v_max3_f32 v195, |v92|, |v93|, v195                        // 000000006B40: D1D303C3 070EBB5C
	v_max3_f32 v195, |v94|, |v95|, v195                        // 000000006B48: D1D303C3 070EBF5E
	v_xor_b32_e32 v60, 32, v0                                  // 000000006B50: 2A7800A0
	v_lshlrev_b32_e32 v60, 2, v60                              // 000000006B54: 24787882
	s_nop 1                                                    // 000000006B58: BF800001
	ds_bpermute_b32 v60, v60, v192                             // 000000006B5C: D87E0000 3C00C03C
	s_waitcnt lgkmcnt(0)                                       // 000000006B64: BF8CC07F
	v_max_f32_e32 v192, v60, v192                              // 000000006B68: 1781813C
	v_xor_b32_e32 v60, 16, v0                                  // 000000006B6C: 2A780090
	v_lshlrev_b32_e32 v60, 2, v60                              // 000000006B70: 24787882
	s_nop 1                                                    // 000000006B74: BF800001
	ds_bpermute_b32 v60, v60, v192                             // 000000006B78: D87E0000 3C00C03C
	s_waitcnt lgkmcnt(0)                                       // 000000006B80: BF8CC07F
	v_max_f32_e32 v192, v60, v192                              // 000000006B84: 1781813C
	v_xor_b32_e32 v60, 32, v0                                  // 000000006B88: 2A7800A0
	v_lshlrev_b32_e32 v60, 2, v60                              // 000000006B8C: 24787882
	s_nop 1                                                    // 000000006B90: BF800001
	ds_bpermute_b32 v60, v60, v193                             // 000000006B94: D87E0000 3C00C13C
	s_waitcnt lgkmcnt(0)                                       // 000000006B9C: BF8CC07F
	v_max_f32_e32 v193, v60, v193                              // 000000006BA0: 1783833C
	v_xor_b32_e32 v60, 16, v0                                  // 000000006BA4: 2A780090
	v_lshlrev_b32_e32 v60, 2, v60                              // 000000006BA8: 24787882
	s_nop 1                                                    // 000000006BAC: BF800001
	ds_bpermute_b32 v60, v60, v193                             // 000000006BB0: D87E0000 3C00C13C
	s_waitcnt lgkmcnt(0)                                       // 000000006BB8: BF8CC07F
	v_max_f32_e32 v193, v60, v193                              // 000000006BBC: 1783833C
	v_xor_b32_e32 v60, 32, v0                                  // 000000006BC0: 2A7800A0
	v_lshlrev_b32_e32 v60, 2, v60                              // 000000006BC4: 24787882
	s_nop 1                                                    // 000000006BC8: BF800001
	ds_bpermute_b32 v60, v60, v194                             // 000000006BCC: D87E0000 3C00C23C
	s_waitcnt lgkmcnt(0)                                       // 000000006BD4: BF8CC07F
	v_max_f32_e32 v194, v60, v194                              // 000000006BD8: 1785853C
	v_xor_b32_e32 v60, 16, v0                                  // 000000006BDC: 2A780090
	v_lshlrev_b32_e32 v60, 2, v60                              // 000000006BE0: 24787882
	s_nop 1                                                    // 000000006BE4: BF800001
	ds_bpermute_b32 v60, v60, v194                             // 000000006BE8: D87E0000 3C00C23C
	s_waitcnt lgkmcnt(0)                                       // 000000006BF0: BF8CC07F
	v_max_f32_e32 v194, v60, v194                              // 000000006BF4: 1785853C
	v_xor_b32_e32 v60, 32, v0                                  // 000000006BF8: 2A7800A0
	v_lshlrev_b32_e32 v60, 2, v60                              // 000000006BFC: 24787882
	s_nop 1                                                    // 000000006C00: BF800001
	ds_bpermute_b32 v60, v60, v195                             // 000000006C04: D87E0000 3C00C33C
	s_waitcnt lgkmcnt(0)                                       // 000000006C0C: BF8CC07F
	v_max_f32_e32 v195, v60, v195                              // 000000006C10: 1787873C
	v_xor_b32_e32 v60, 16, v0                                  // 000000006C14: 2A780090
	v_lshlrev_b32_e32 v60, 2, v60                              // 000000006C18: 24787882
	s_nop 1                                                    // 000000006C1C: BF800001
	ds_bpermute_b32 v60, v60, v195                             // 000000006C20: D87E0000 3C00C33C
	s_waitcnt lgkmcnt(0)                                       // 000000006C28: BF8CC07F
	v_max_f32_e32 v195, v60, v195                              // 000000006C2C: 1787873C
	v_lshlrev_b32_e32 v60, 2, v0                               // 000000006C30: 24780082
	s_mul_i32 s56, 64, s7                                      // 000000006C34: 923807C0
	v_add_u32_e32 v60, s56, v60                                // 000000006C38: 68787838
	s_mov_b32 s56, 0xffff                                      // 000000006C3C: BEB800FF 0000FFFF
	s_mov_b32 s57, 0                                           // 000000006C44: BEB90080
	s_mov_b64 exec, s[56:57]                                   // 000000006C48: BEFE0138
	ds_write_b32 v60, v192 offset:37120                        // 000000006C4C: D81A9100 0000C03C
	ds_write_b32 v60, v193 offset:37376                        // 000000006C54: D81A9200 0000C13C
	ds_write_b32 v60, v194 offset:37632                        // 000000006C5C: D81A9300 0000C23C
	ds_write_b32 v60, v195 offset:37888                        // 000000006C64: D81A9400 0000C33C
	s_mov_b32 s56, -1                                          // 000000006C6C: BEB800C1
	s_mov_b32 s57, -1                                          // 000000006C70: BEB900C1
	s_mov_b64 exec, s[56:57]                                   // 000000006C74: BEFE0138
	s_waitcnt lgkmcnt(0)                                       // 000000006C78: BF8CC07F
	s_barrier                                                  // 000000006C7C: BF8A0000
	v_lshlrev_b32_e32 v60, 2, v0                               // 000000006C80: 24780082
	ds_read_b32 v252, v60 offset:37120                         // 000000006C84: D86C9100 FC00003C
	ds_read_b32 v253, v60 offset:37376                         // 000000006C8C: D86C9200 FD00003C
	ds_read_b32 v254, v60 offset:37632                         // 000000006C94: D86C9300 FE00003C
	ds_read_b32 v255, v60 offset:37888                         // 000000006C9C: D86C9400 FF00003C
	s_waitcnt lgkmcnt(0)                                       // 000000006CA4: BF8CC07F
	v_xor_b32_e32 v60, 32, v0                                  // 000000006CA8: 2A7800A0
	v_lshlrev_b32_e32 v60, 2, v60                              // 000000006CAC: 24787882
	s_nop 1                                                    // 000000006CB0: BF800001
	ds_bpermute_b32 v60, v60, v252                             // 000000006CB4: D87E0000 3C00FC3C
	s_waitcnt lgkmcnt(0)                                       // 000000006CBC: BF8CC07F
	v_max_f32_e32 v252, v60, v252                              // 000000006CC0: 17F9F93C
	v_xor_b32_e32 v60, 16, v0                                  // 000000006CC4: 2A780090
	v_lshlrev_b32_e32 v60, 2, v60                              // 000000006CC8: 24787882
	s_nop 1                                                    // 000000006CCC: BF800001
	ds_bpermute_b32 v60, v60, v252                             // 000000006CD0: D87E0000 3C00FC3C
	s_waitcnt lgkmcnt(0)                                       // 000000006CD8: BF8CC07F
	v_max_f32_e32 v252, v60, v252                              // 000000006CDC: 17F9F93C
	v_xor_b32_e32 v60, 32, v0                                  // 000000006CE0: 2A7800A0
	v_lshlrev_b32_e32 v60, 2, v60                              // 000000006CE4: 24787882
	s_nop 1                                                    // 000000006CE8: BF800001
	ds_bpermute_b32 v60, v60, v253                             // 000000006CEC: D87E0000 3C00FD3C
	s_waitcnt lgkmcnt(0)                                       // 000000006CF4: BF8CC07F
	v_max_f32_e32 v253, v60, v253                              // 000000006CF8: 17FBFB3C
	v_xor_b32_e32 v60, 16, v0                                  // 000000006CFC: 2A780090
	v_lshlrev_b32_e32 v60, 2, v60                              // 000000006D00: 24787882
	s_nop 1                                                    // 000000006D04: BF800001
	ds_bpermute_b32 v60, v60, v253                             // 000000006D08: D87E0000 3C00FD3C
	s_waitcnt lgkmcnt(0)                                       // 000000006D10: BF8CC07F
	v_max_f32_e32 v253, v60, v253                              // 000000006D14: 17FBFB3C
	v_xor_b32_e32 v60, 32, v0                                  // 000000006D18: 2A7800A0
	v_lshlrev_b32_e32 v60, 2, v60                              // 000000006D1C: 24787882
	s_nop 1                                                    // 000000006D20: BF800001
	ds_bpermute_b32 v60, v60, v254                             // 000000006D24: D87E0000 3C00FE3C
	s_waitcnt lgkmcnt(0)                                       // 000000006D2C: BF8CC07F
	v_max_f32_e32 v254, v60, v254                              // 000000006D30: 17FDFD3C
	v_xor_b32_e32 v60, 16, v0                                  // 000000006D34: 2A780090
	v_lshlrev_b32_e32 v60, 2, v60                              // 000000006D38: 24787882
	s_nop 1                                                    // 000000006D3C: BF800001
	ds_bpermute_b32 v60, v60, v254                             // 000000006D40: D87E0000 3C00FE3C
	s_waitcnt lgkmcnt(0)                                       // 000000006D48: BF8CC07F
	v_max_f32_e32 v254, v60, v254                              // 000000006D4C: 17FDFD3C
	v_xor_b32_e32 v60, 32, v0                                  // 000000006D50: 2A7800A0
	v_lshlrev_b32_e32 v60, 2, v60                              // 000000006D54: 24787882
	s_nop 1                                                    // 000000006D58: BF800001
	ds_bpermute_b32 v60, v60, v255                             // 000000006D5C: D87E0000 3C00FF3C
	s_waitcnt lgkmcnt(0)                                       // 000000006D64: BF8CC07F
	v_max_f32_e32 v255, v60, v255                              // 000000006D68: 17FFFF3C
	v_xor_b32_e32 v60, 16, v0                                  // 000000006D6C: 2A780090
	v_lshlrev_b32_e32 v60, 2, v60                              // 000000006D70: 24787882
	s_nop 1                                                    // 000000006D74: BF800001
	ds_bpermute_b32 v60, v60, v255                             // 000000006D78: D87E0000 3C00FF3C
	s_waitcnt lgkmcnt(0)                                       // 000000006D80: BF8CC07F
	v_max_f32_e32 v255, v60, v255                              // 000000006D84: 17FFFF3C
	v_max_f32_e32 v192, v252, v192                             // 000000006D88: 178181FC
	v_max_f32_e32 v193, v253, v193                             // 000000006D8C: 178383FD
	v_max_f32_e32 v194, v254, v194                             // 000000006D90: 178585FE
	v_max_f32_e32 v195, v255, v195                             // 000000006D94: 178787FF
	v_rcp_f32_e32 v192, v192                                   // 000000006D98: 7F8045C0
	v_rcp_f32_e32 v193, v193                                   // 000000006D9C: 7F8245C1
	v_rcp_f32_e32 v194, v194                                   // 000000006DA0: 7F8445C2
	v_rcp_f32_e32 v195, v195                                   // 000000006DA4: 7F8645C3
	v_mov_b32_e32 v60, 0x43700000                              // 000000006DA8: 7E7802FF 43700000
	v_mul_f32_e32 v192, v60, v192                              // 000000006DB0: 0B81813C
	v_mul_f32_e32 v193, v60, v193                              // 000000006DB4: 0B83833C
	v_mul_f32_e32 v194, v60, v194                              // 000000006DB8: 0B85853C
	v_mul_f32_e32 v195, v60, v195                              // 000000006DBC: 0B87873C
	v_mul_f32_e32 v64, v192, v64                               // 000000006DC0: 0A8081C0
	v_mul_f32_e32 v65, v192, v65                               // 000000006DC4: 0A8283C0
	v_mul_f32_e32 v66, v192, v66                               // 000000006DC8: 0A8485C0
	v_mul_f32_e32 v67, v192, v67                               // 000000006DCC: 0A8687C0
	v_cvt_pk_fp8_f32 v64, v64, v65                             // 000000006DD0: D2A20040 00028340
	v_cvt_pk_fp8_f32 v64, v66, v67 op_sel:[0,0,1]              // 000000006DD8: D2A24040 00028742
	v_mul_f32_e32 v68, v193, v68                               // 000000006DE0: 0A8889C1
	v_mul_f32_e32 v69, v193, v69                               // 000000006DE4: 0A8A8BC1
	v_mul_f32_e32 v70, v193, v70                               // 000000006DE8: 0A8C8DC1
	v_mul_f32_e32 v71, v193, v71                               // 000000006DEC: 0A8E8FC1
	v_cvt_pk_fp8_f32 v65, v68, v69                             // 000000006DF0: D2A20041 00028B44
	v_cvt_pk_fp8_f32 v65, v70, v71 op_sel:[0,0,1]              // 000000006DF8: D2A24041 00028F46
	v_mul_f32_e32 v72, v194, v72                               // 000000006E00: 0A9091C2
	v_mul_f32_e32 v73, v194, v73                               // 000000006E04: 0A9293C2
	v_mul_f32_e32 v74, v194, v74                               // 000000006E08: 0A9495C2
	v_mul_f32_e32 v75, v194, v75                               // 000000006E0C: 0A9697C2
	v_cvt_pk_fp8_f32 v66, v72, v73                             // 000000006E10: D2A20042 00029348
	v_cvt_pk_fp8_f32 v66, v74, v75 op_sel:[0,0,1]              // 000000006E18: D2A24042 0002974A
	v_mul_f32_e32 v76, v195, v76                               // 000000006E20: 0A9899C3
	v_mul_f32_e32 v77, v195, v77                               // 000000006E24: 0A9A9BC3
	v_mul_f32_e32 v78, v195, v78                               // 000000006E28: 0A9C9DC3
	v_mul_f32_e32 v79, v195, v79                               // 000000006E2C: 0A9E9FC3
	v_cvt_pk_fp8_f32 v67, v76, v77                             // 000000006E30: D2A20043 00029B4C
	v_cvt_pk_fp8_f32 v67, v78, v79 op_sel:[0,0,1]              // 000000006E38: D2A24043 00029F4E
	v_mul_f32_e32 v80, v192, v80                               // 000000006E40: 0AA0A1C0
	v_mul_f32_e32 v81, v192, v81                               // 000000006E44: 0AA2A3C0
	v_mul_f32_e32 v82, v192, v82                               // 000000006E48: 0AA4A5C0
	v_mul_f32_e32 v83, v192, v83                               // 000000006E4C: 0AA6A7C0
	v_cvt_pk_fp8_f32 v68, v80, v81                             // 000000006E50: D2A20044 0002A350
	v_cvt_pk_fp8_f32 v68, v82, v83 op_sel:[0,0,1]              // 000000006E58: D2A24044 0002A752
	v_mul_f32_e32 v84, v193, v84                               // 000000006E60: 0AA8A9C1
	v_mul_f32_e32 v85, v193, v85                               // 000000006E64: 0AAAABC1
	v_mul_f32_e32 v86, v193, v86                               // 000000006E68: 0AACADC1
	v_mul_f32_e32 v87, v193, v87                               // 000000006E6C: 0AAEAFC1
	v_cvt_pk_fp8_f32 v69, v84, v85                             // 000000006E70: D2A20045 0002AB54
	v_cvt_pk_fp8_f32 v69, v86, v87 op_sel:[0,0,1]              // 000000006E78: D2A24045 0002AF56
	v_mul_f32_e32 v88, v194, v88                               // 000000006E80: 0AB0B1C2
	v_mul_f32_e32 v89, v194, v89                               // 000000006E84: 0AB2B3C2
	v_mul_f32_e32 v90, v194, v90                               // 000000006E88: 0AB4B5C2
	v_mul_f32_e32 v91, v194, v91                               // 000000006E8C: 0AB6B7C2
	v_cvt_pk_fp8_f32 v70, v88, v89                             // 000000006E90: D2A20046 0002B358
	v_cvt_pk_fp8_f32 v70, v90, v91 op_sel:[0,0,1]              // 000000006E98: D2A24046 0002B75A
	v_mul_f32_e32 v92, v195, v92                               // 000000006EA0: 0AB8B9C3
	v_mul_f32_e32 v93, v195, v93                               // 000000006EA4: 0ABABBC3
	v_mul_f32_e32 v94, v195, v94                               // 000000006EA8: 0ABCBDC3
	v_mul_f32_e32 v95, v195, v95                               // 000000006EAC: 0ABEBFC3
	v_cvt_pk_fp8_f32 v71, v92, v93                             // 000000006EB0: D2A20047 0002BB5C
	v_cvt_pk_fp8_f32 v71, v94, v95 op_sel:[0,0,1]              // 000000006EB8: D2A24047 0002BF5E
	v_rcp_f32_e32 v21, v192                                    // 000000006EC0: 7E2A45C0
	v_rcp_f32_e32 v22, v193                                    // 000000006EC4: 7E2C45C1
	v_rcp_f32_e32 v23, v194                                    // 000000006EC8: 7E2E45C2
	v_rcp_f32_e32 v24, v195                                    // 000000006ECC: 7E3045C3
	v_mov_b32_e32 v196, 0x358637bd                             // 000000006ED0: 7F8802FF 358637BD
	v_mov_b32_e32 v197, 0x358637bd                             // 000000006ED8: 7F8A02FF 358637BD
	v_mov_b32_e32 v198, 0x358637bd                             // 000000006EE0: 7F8C02FF 358637BD
	v_mov_b32_e32 v199, 0x358637bd                             // 000000006EE8: 7F8E02FF 358637BD
	v_max3_f32 v196, |v96|, |v97|, v196                        // 000000006EF0: D1D303C4 0712C360
	v_max3_f32 v196, |v98|, |v99|, v196                        // 000000006EF8: D1D303C4 0712C762
	v_max3_f32 v197, |v100|, |v101|, v197                      // 000000006F00: D1D303C5 0716CB64
	v_max3_f32 v197, |v102|, |v103|, v197                      // 000000006F08: D1D303C5 0716CF66
	v_max3_f32 v198, |v104|, |v105|, v198                      // 000000006F10: D1D303C6 071AD368
	v_max3_f32 v198, |v106|, |v107|, v198                      // 000000006F18: D1D303C6 071AD76A
	v_max3_f32 v199, |v108|, |v109|, v199                      // 000000006F20: D1D303C7 071EDB6C
	v_max3_f32 v199, |v110|, |v111|, v199                      // 000000006F28: D1D303C7 071EDF6E
	v_max3_f32 v196, |v112|, |v113|, v196                      // 000000006F30: D1D303C4 0712E370
	v_max3_f32 v196, |v114|, |v115|, v196                      // 000000006F38: D1D303C4 0712E772
	v_max3_f32 v197, |v116|, |v117|, v197                      // 000000006F40: D1D303C5 0716EB74
	v_max3_f32 v197, |v118|, |v119|, v197                      // 000000006F48: D1D303C5 0716EF76
	v_max3_f32 v198, |v120|, |v121|, v198                      // 000000006F50: D1D303C6 071AF378
	v_max3_f32 v198, |v122|, |v123|, v198                      // 000000006F58: D1D303C6 071AF77A
	v_max3_f32 v199, |v124|, |v125|, v199                      // 000000006F60: D1D303C7 071EFB7C
	v_max3_f32 v199, |v126|, |v127|, v199                      // 000000006F68: D1D303C7 071EFF7E
	v_xor_b32_e32 v60, 32, v0                                  // 000000006F70: 2A7800A0
	v_lshlrev_b32_e32 v60, 2, v60                              // 000000006F74: 24787882
	s_nop 1                                                    // 000000006F78: BF800001
	ds_bpermute_b32 v60, v60, v196                             // 000000006F7C: D87E0000 3C00C43C
	s_waitcnt lgkmcnt(0)                                       // 000000006F84: BF8CC07F
	v_max_f32_e32 v196, v60, v196                              // 000000006F88: 1789893C
	v_xor_b32_e32 v60, 16, v0                                  // 000000006F8C: 2A780090
	v_lshlrev_b32_e32 v60, 2, v60                              // 000000006F90: 24787882
	s_nop 1                                                    // 000000006F94: BF800001
	ds_bpermute_b32 v60, v60, v196                             // 000000006F98: D87E0000 3C00C43C
	s_waitcnt lgkmcnt(0)                                       // 000000006FA0: BF8CC07F
	v_max_f32_e32 v196, v60, v196                              // 000000006FA4: 1789893C
	v_xor_b32_e32 v60, 32, v0                                  // 000000006FA8: 2A7800A0
	v_lshlrev_b32_e32 v60, 2, v60                              // 000000006FAC: 24787882
	s_nop 1                                                    // 000000006FB0: BF800001
	ds_bpermute_b32 v60, v60, v197                             // 000000006FB4: D87E0000 3C00C53C
	s_waitcnt lgkmcnt(0)                                       // 000000006FBC: BF8CC07F
	v_max_f32_e32 v197, v60, v197                              // 000000006FC0: 178B8B3C
	v_xor_b32_e32 v60, 16, v0                                  // 000000006FC4: 2A780090
	v_lshlrev_b32_e32 v60, 2, v60                              // 000000006FC8: 24787882
	s_nop 1                                                    // 000000006FCC: BF800001
	ds_bpermute_b32 v60, v60, v197                             // 000000006FD0: D87E0000 3C00C53C
	s_waitcnt lgkmcnt(0)                                       // 000000006FD8: BF8CC07F
	v_max_f32_e32 v197, v60, v197                              // 000000006FDC: 178B8B3C
	v_xor_b32_e32 v60, 32, v0                                  // 000000006FE0: 2A7800A0
	v_lshlrev_b32_e32 v60, 2, v60                              // 000000006FE4: 24787882
	s_nop 1                                                    // 000000006FE8: BF800001
	ds_bpermute_b32 v60, v60, v198                             // 000000006FEC: D87E0000 3C00C63C
	s_waitcnt lgkmcnt(0)                                       // 000000006FF4: BF8CC07F
	v_max_f32_e32 v198, v60, v198                              // 000000006FF8: 178D8D3C
	v_xor_b32_e32 v60, 16, v0                                  // 000000006FFC: 2A780090
	v_lshlrev_b32_e32 v60, 2, v60                              // 000000007000: 24787882
	s_nop 1                                                    // 000000007004: BF800001
	ds_bpermute_b32 v60, v60, v198                             // 000000007008: D87E0000 3C00C63C
	s_waitcnt lgkmcnt(0)                                       // 000000007010: BF8CC07F
	v_max_f32_e32 v198, v60, v198                              // 000000007014: 178D8D3C
	v_xor_b32_e32 v60, 32, v0                                  // 000000007018: 2A7800A0
	v_lshlrev_b32_e32 v60, 2, v60                              // 00000000701C: 24787882
	s_nop 1                                                    // 000000007020: BF800001
	ds_bpermute_b32 v60, v60, v199                             // 000000007024: D87E0000 3C00C73C
	s_waitcnt lgkmcnt(0)                                       // 00000000702C: BF8CC07F
	v_max_f32_e32 v199, v60, v199                              // 000000007030: 178F8F3C
	v_xor_b32_e32 v60, 16, v0                                  // 000000007034: 2A780090
	v_lshlrev_b32_e32 v60, 2, v60                              // 000000007038: 24787882
	s_nop 1                                                    // 00000000703C: BF800001
	ds_bpermute_b32 v60, v60, v199                             // 000000007040: D87E0000 3C00C73C
	s_waitcnt lgkmcnt(0)                                       // 000000007048: BF8CC07F
	v_max_f32_e32 v199, v60, v199                              // 00000000704C: 178F8F3C
	v_lshlrev_b32_e32 v60, 2, v0                               // 000000007050: 24780082
	s_mul_i32 s56, 64, s7                                      // 000000007054: 923807C0
	v_add_u32_e32 v60, s56, v60                                // 000000007058: 68787838
	s_mov_b32 s56, 0xffff                                      // 00000000705C: BEB800FF 0000FFFF
	s_mov_b32 s57, 0                                           // 000000007064: BEB90080
	s_mov_b64 exec, s[56:57]                                   // 000000007068: BEFE0138
	ds_write_b32 v60, v196 offset:37120                        // 00000000706C: D81A9100 0000C43C
	ds_write_b32 v60, v197 offset:37376                        // 000000007074: D81A9200 0000C53C
	ds_write_b32 v60, v198 offset:37632                        // 00000000707C: D81A9300 0000C63C
	ds_write_b32 v60, v199 offset:37888                        // 000000007084: D81A9400 0000C73C
	s_mov_b32 s56, -1                                          // 00000000708C: BEB800C1
	s_mov_b32 s57, -1                                          // 000000007090: BEB900C1
	s_mov_b64 exec, s[56:57]                                   // 000000007094: BEFE0138
	s_waitcnt lgkmcnt(0)                                       // 000000007098: BF8CC07F
	s_barrier                                                  // 00000000709C: BF8A0000
	v_lshlrev_b32_e32 v60, 2, v0                               // 0000000070A0: 24780082
	ds_read_b32 v252, v60 offset:37120                         // 0000000070A4: D86C9100 FC00003C
	ds_read_b32 v253, v60 offset:37376                         // 0000000070AC: D86C9200 FD00003C
	ds_read_b32 v254, v60 offset:37632                         // 0000000070B4: D86C9300 FE00003C
	ds_read_b32 v255, v60 offset:37888                         // 0000000070BC: D86C9400 FF00003C
	s_waitcnt lgkmcnt(0)                                       // 0000000070C4: BF8CC07F
	v_xor_b32_e32 v60, 32, v0                                  // 0000000070C8: 2A7800A0
	v_lshlrev_b32_e32 v60, 2, v60                              // 0000000070CC: 24787882
	s_nop 1                                                    // 0000000070D0: BF800001
	ds_bpermute_b32 v60, v60, v252                             // 0000000070D4: D87E0000 3C00FC3C
	s_waitcnt lgkmcnt(0)                                       // 0000000070DC: BF8CC07F
	v_max_f32_e32 v252, v60, v252                              // 0000000070E0: 17F9F93C
	v_xor_b32_e32 v60, 16, v0                                  // 0000000070E4: 2A780090
	v_lshlrev_b32_e32 v60, 2, v60                              // 0000000070E8: 24787882
	s_nop 1                                                    // 0000000070EC: BF800001
	ds_bpermute_b32 v60, v60, v252                             // 0000000070F0: D87E0000 3C00FC3C
	s_waitcnt lgkmcnt(0)                                       // 0000000070F8: BF8CC07F
	v_max_f32_e32 v252, v60, v252                              // 0000000070FC: 17F9F93C
	v_xor_b32_e32 v60, 32, v0                                  // 000000007100: 2A7800A0
	v_lshlrev_b32_e32 v60, 2, v60                              // 000000007104: 24787882
	s_nop 1                                                    // 000000007108: BF800001
	ds_bpermute_b32 v60, v60, v253                             // 00000000710C: D87E0000 3C00FD3C
	s_waitcnt lgkmcnt(0)                                       // 000000007114: BF8CC07F
	v_max_f32_e32 v253, v60, v253                              // 000000007118: 17FBFB3C
	v_xor_b32_e32 v60, 16, v0                                  // 00000000711C: 2A780090
	v_lshlrev_b32_e32 v60, 2, v60                              // 000000007120: 24787882
	s_nop 1                                                    // 000000007124: BF800001
	ds_bpermute_b32 v60, v60, v253                             // 000000007128: D87E0000 3C00FD3C
	s_waitcnt lgkmcnt(0)                                       // 000000007130: BF8CC07F
	v_max_f32_e32 v253, v60, v253                              // 000000007134: 17FBFB3C
	v_xor_b32_e32 v60, 32, v0                                  // 000000007138: 2A7800A0
	v_lshlrev_b32_e32 v60, 2, v60                              // 00000000713C: 24787882
	s_nop 1                                                    // 000000007140: BF800001
	ds_bpermute_b32 v60, v60, v254                             // 000000007144: D87E0000 3C00FE3C
	s_waitcnt lgkmcnt(0)                                       // 00000000714C: BF8CC07F
	v_max_f32_e32 v254, v60, v254                              // 000000007150: 17FDFD3C
	v_xor_b32_e32 v60, 16, v0                                  // 000000007154: 2A780090
	v_lshlrev_b32_e32 v60, 2, v60                              // 000000007158: 24787882
	s_nop 1                                                    // 00000000715C: BF800001
	ds_bpermute_b32 v60, v60, v254                             // 000000007160: D87E0000 3C00FE3C
	s_waitcnt lgkmcnt(0)                                       // 000000007168: BF8CC07F
	v_max_f32_e32 v254, v60, v254                              // 00000000716C: 17FDFD3C
	v_xor_b32_e32 v60, 32, v0                                  // 000000007170: 2A7800A0
	v_lshlrev_b32_e32 v60, 2, v60                              // 000000007174: 24787882
	s_nop 1                                                    // 000000007178: BF800001
	ds_bpermute_b32 v60, v60, v255                             // 00000000717C: D87E0000 3C00FF3C
	s_waitcnt lgkmcnt(0)                                       // 000000007184: BF8CC07F
	v_max_f32_e32 v255, v60, v255                              // 000000007188: 17FFFF3C
	v_xor_b32_e32 v60, 16, v0                                  // 00000000718C: 2A780090
	v_lshlrev_b32_e32 v60, 2, v60                              // 000000007190: 24787882
	s_nop 1                                                    // 000000007194: BF800001
	ds_bpermute_b32 v60, v60, v255                             // 000000007198: D87E0000 3C00FF3C
	s_waitcnt lgkmcnt(0)                                       // 0000000071A0: BF8CC07F
	v_max_f32_e32 v255, v60, v255                              // 0000000071A4: 17FFFF3C
	v_max_f32_e32 v196, v252, v196                             // 0000000071A8: 178989FC
	v_max_f32_e32 v197, v253, v197                             // 0000000071AC: 178B8BFD
	v_max_f32_e32 v198, v254, v198                             // 0000000071B0: 178D8DFE
	v_max_f32_e32 v199, v255, v199                             // 0000000071B4: 178F8FFF
	v_rcp_f32_e32 v196, v196                                   // 0000000071B8: 7F8845C4
	v_rcp_f32_e32 v197, v197                                   // 0000000071BC: 7F8A45C5
	v_rcp_f32_e32 v198, v198                                   // 0000000071C0: 7F8C45C6
	v_rcp_f32_e32 v199, v199                                   // 0000000071C4: 7F8E45C7
	v_mov_b32_e32 v60, 0x43700000                              // 0000000071C8: 7E7802FF 43700000
	v_mul_f32_e32 v196, v60, v196                              // 0000000071D0: 0B89893C
	v_mul_f32_e32 v197, v60, v197                              // 0000000071D4: 0B8B8B3C
	v_mul_f32_e32 v198, v60, v198                              // 0000000071D8: 0B8D8D3C
	v_mul_f32_e32 v199, v60, v199                              // 0000000071DC: 0B8F8F3C
	v_mul_f32_e32 v96, v196, v96                               // 0000000071E0: 0AC0C1C4
	v_mul_f32_e32 v97, v196, v97                               // 0000000071E4: 0AC2C3C4
	v_mul_f32_e32 v98, v196, v98                               // 0000000071E8: 0AC4C5C4
	v_mul_f32_e32 v99, v196, v99                               // 0000000071EC: 0AC6C7C4
	v_cvt_pk_fp8_f32 v72, v96, v97                             // 0000000071F0: D2A20048 0002C360
	v_cvt_pk_fp8_f32 v72, v98, v99 op_sel:[0,0,1]              // 0000000071F8: D2A24048 0002C762
	v_mul_f32_e32 v100, v197, v100                             // 000000007200: 0AC8C9C5
	v_mul_f32_e32 v101, v197, v101                             // 000000007204: 0ACACBC5
	v_mul_f32_e32 v102, v197, v102                             // 000000007208: 0ACCCDC5
	v_mul_f32_e32 v103, v197, v103                             // 00000000720C: 0ACECFC5
	v_cvt_pk_fp8_f32 v73, v100, v101                           // 000000007210: D2A20049 0002CB64
	v_cvt_pk_fp8_f32 v73, v102, v103 op_sel:[0,0,1]            // 000000007218: D2A24049 0002CF66
	v_mul_f32_e32 v104, v198, v104                             // 000000007220: 0AD0D1C6
	v_mul_f32_e32 v105, v198, v105                             // 000000007224: 0AD2D3C6
	v_mul_f32_e32 v106, v198, v106                             // 000000007228: 0AD4D5C6
	v_mul_f32_e32 v107, v198, v107                             // 00000000722C: 0AD6D7C6
	v_cvt_pk_fp8_f32 v74, v104, v105                           // 000000007230: D2A2004A 0002D368
	v_cvt_pk_fp8_f32 v74, v106, v107 op_sel:[0,0,1]            // 000000007238: D2A2404A 0002D76A
	v_mul_f32_e32 v108, v199, v108                             // 000000007240: 0AD8D9C7
	v_mul_f32_e32 v109, v199, v109                             // 000000007244: 0ADADBC7
	v_mul_f32_e32 v110, v199, v110                             // 000000007248: 0ADCDDC7
	v_mul_f32_e32 v111, v199, v111                             // 00000000724C: 0ADEDFC7
	v_cvt_pk_fp8_f32 v75, v108, v109                           // 000000007250: D2A2004B 0002DB6C
	v_cvt_pk_fp8_f32 v75, v110, v111 op_sel:[0,0,1]            // 000000007258: D2A2404B 0002DF6E
	v_mul_f32_e32 v112, v196, v112                             // 000000007260: 0AE0E1C4
	v_mul_f32_e32 v113, v196, v113                             // 000000007264: 0AE2E3C4
	v_mul_f32_e32 v114, v196, v114                             // 000000007268: 0AE4E5C4
	v_mul_f32_e32 v115, v196, v115                             // 00000000726C: 0AE6E7C4
	v_cvt_pk_fp8_f32 v76, v112, v113                           // 000000007270: D2A2004C 0002E370
	v_cvt_pk_fp8_f32 v76, v114, v115 op_sel:[0,0,1]            // 000000007278: D2A2404C 0002E772
	v_mul_f32_e32 v116, v197, v116                             // 000000007280: 0AE8E9C5
	v_mul_f32_e32 v117, v197, v117                             // 000000007284: 0AEAEBC5
	v_mul_f32_e32 v118, v197, v118                             // 000000007288: 0AECEDC5
	v_mul_f32_e32 v119, v197, v119                             // 00000000728C: 0AEEEFC5
	v_cvt_pk_fp8_f32 v77, v116, v117                           // 000000007290: D2A2004D 0002EB74
	v_cvt_pk_fp8_f32 v77, v118, v119 op_sel:[0,0,1]            // 000000007298: D2A2404D 0002EF76
	v_mul_f32_e32 v120, v198, v120                             // 0000000072A0: 0AF0F1C6
	v_mul_f32_e32 v121, v198, v121                             // 0000000072A4: 0AF2F3C6
	v_mul_f32_e32 v122, v198, v122                             // 0000000072A8: 0AF4F5C6
	v_mul_f32_e32 v123, v198, v123                             // 0000000072AC: 0AF6F7C6
	v_cvt_pk_fp8_f32 v78, v120, v121                           // 0000000072B0: D2A2004E 0002F378
	v_cvt_pk_fp8_f32 v78, v122, v123 op_sel:[0,0,1]            // 0000000072B8: D2A2404E 0002F77A
	v_mul_f32_e32 v124, v199, v124                             // 0000000072C0: 0AF8F9C7
	v_mul_f32_e32 v125, v199, v125                             // 0000000072C4: 0AFAFBC7
	v_mul_f32_e32 v126, v199, v126                             // 0000000072C8: 0AFCFDC7
	v_mul_f32_e32 v127, v199, v127                             // 0000000072CC: 0AFEFFC7
	v_cvt_pk_fp8_f32 v79, v124, v125                           // 0000000072D0: D2A2004F 0002FB7C
	v_cvt_pk_fp8_f32 v79, v126, v127 op_sel:[0,0,1]            // 0000000072D8: D2A2404F 0002FF7E
	v_rcp_f32_e32 v25, v196                                    // 0000000072E0: 7E3245C4
	v_rcp_f32_e32 v26, v197                                    // 0000000072E4: 7E3445C5
	v_rcp_f32_e32 v27, v198                                    // 0000000072E8: 7E3645C6
	v_rcp_f32_e32 v28, v199                                    // 0000000072EC: 7E3845C7
	v_lshrrev_b32_e32 v60, 5, v0                               // 0000000072F0: 20780085
	v_lshlrev_b32_e32 v61, 5, v60                              // 0000000072F4: 247A7885
	v_and_b32_e32 v60, 31, v0                                  // 0000000072F8: 2678009F
	v_lshrrev_b32_e32 v62, 4, v60                              // 0000000072FC: 207C7884
	v_add_u32_e32 v61, v62, v61                                // 000000007300: 687A7B3E
	v_and_b32_e32 v60, 15, v0                                  // 000000007304: 2678008F
	v_lshlrev_b32_e32 v60, 1, v60                              // 000000007308: 24787881
	v_add_u32_e32 v61, v60, v61                                // 00000000730C: 687A7B3C
	v_lshlrev_b32_e32 v60, 2, v61                              // 000000007310: 24787A82
	s_mul_i32 s56, 0x100, s7                                   // 000000007314: 923807FF 00000100
	v_add_u32_e64 v60, v60, s56                                // 00000000731C: D134003C 0000713C
	ds_write_b32 v60, v64 offset:41216                         // 000000007324: D81AA100 0000403C
	ds_write_b32 v60, v65 offset:45312                         // 00000000732C: D81AB100 0000413C
	ds_write_b32 v60, v66 offset:49408                         // 000000007334: D81AC100 0000423C
	ds_write_b32 v60, v67 offset:53504                         // 00000000733C: D81AD100 0000433C
	ds_write_b32 v60, v68 offset:42240                         // 000000007344: D81AA500 0000443C
	ds_write_b32 v60, v69 offset:46336                         // 00000000734C: D81AB500 0000453C
	ds_write_b32 v60, v70 offset:50432                         // 000000007354: D81AC500 0000463C
	ds_write_b32 v60, v71 offset:54528                         // 00000000735C: D81AD500 0000473C
	ds_write_b32 v60, v72 offset:43264                         // 000000007364: D81AA900 0000483C
	ds_write_b32 v60, v73 offset:47360                         // 00000000736C: D81AB900 0000493C
	ds_write_b32 v60, v74 offset:51456                         // 000000007374: D81AC900 00004A3C
	ds_write_b32 v60, v75 offset:55552                         // 00000000737C: D81AD900 00004B3C
	ds_write_b32 v60, v76 offset:44288                         // 000000007384: D81AAD00 00004C3C
	ds_write_b32 v60, v77 offset:48384                         // 00000000738C: D81ABD00 00004D3C
	ds_write_b32 v60, v78 offset:52480                         // 000000007394: D81ACD00 00004E3C
	ds_write_b32 v60, v79 offset:56576                         // 00000000739C: D81ADD00 00004F3C
	s_waitcnt lgkmcnt(0)                                       // 0000000073A4: BF8CC07F
	s_barrier                                                  // 0000000073A8: BF8A0000
	v_lshrrev_b32_e32 v60, 4, v0                               // 0000000073AC: 20780084
	v_lshlrev_b32_e32 v61, 6, v60                              // 0000000073B0: 247A7886
	v_and_b32_e32 v60, 15, v0                                  // 0000000073B4: 2678008F
	v_lshlrev_b32_e32 v60, 1, v60                              // 0000000073B8: 24787881
	v_add_u32_e32 v61, v60, v61                                // 0000000073BC: 687A7B3C
	v_lshlrev_b32_e32 v60, 2, v61                              // 0000000073C0: 24787A82
	ds_read_b64 a[128:129], v60 offset:41216                   // 0000000073C4: DAECA100 8000003C
	ds_read_b64 a[130:131], v60 offset:41344                   // 0000000073CC: DAECA180 8200003C
	ds_read_b64 a[132:133], v60 offset:42240                   // 0000000073D4: DAECA500 8400003C
	ds_read_b64 a[134:135], v60 offset:42368                   // 0000000073DC: DAECA580 8600003C
	ds_read_b64 a[136:137], v60 offset:43264                   // 0000000073E4: DAECA900 8800003C
	ds_read_b64 a[138:139], v60 offset:43392                   // 0000000073EC: DAECA980 8A00003C
	ds_read_b64 a[140:141], v60 offset:44288                   // 0000000073F4: DAECAD00 8C00003C
	ds_read_b64 a[142:143], v60 offset:44416                   // 0000000073FC: DAECAD80 8E00003C
	ds_read_b64 a[144:145], v60 offset:45312                   // 000000007404: DAECB100 9000003C
	ds_read_b64 a[146:147], v60 offset:45440                   // 00000000740C: DAECB180 9200003C
	ds_read_b64 a[148:149], v60 offset:46336                   // 000000007414: DAECB500 9400003C
	ds_read_b64 a[150:151], v60 offset:46464                   // 00000000741C: DAECB580 9600003C
	ds_read_b64 a[152:153], v60 offset:47360                   // 000000007424: DAECB900 9800003C
	ds_read_b64 a[154:155], v60 offset:47488                   // 00000000742C: DAECB980 9A00003C
	ds_read_b64 a[156:157], v60 offset:48384                   // 000000007434: DAECBD00 9C00003C
	ds_read_b64 a[158:159], v60 offset:48512                   // 00000000743C: DAECBD80 9E00003C
	ds_read_b64 a[160:161], v60 offset:49408                   // 000000007444: DAECC100 A000003C
	ds_read_b64 a[162:163], v60 offset:49536                   // 00000000744C: DAECC180 A200003C
	ds_read_b64 a[164:165], v60 offset:50432                   // 000000007454: DAECC500 A400003C
	ds_read_b64 a[166:167], v60 offset:50560                   // 00000000745C: DAECC580 A600003C
	ds_read_b64 a[168:169], v60 offset:51456                   // 000000007464: DAECC900 A800003C
	ds_read_b64 a[170:171], v60 offset:51584                   // 00000000746C: DAECC980 AA00003C
	ds_read_b64 a[172:173], v60 offset:52480                   // 000000007474: DAECCD00 AC00003C
	ds_read_b64 a[174:175], v60 offset:52608                   // 00000000747C: DAECCD80 AE00003C
	ds_read_b64 a[176:177], v60 offset:53504                   // 000000007484: DAECD100 B000003C
	ds_read_b64 a[178:179], v60 offset:53632                   // 00000000748C: DAECD180 B200003C
	ds_read_b64 a[180:181], v60 offset:54528                   // 000000007494: DAECD500 B400003C
	ds_read_b64 a[182:183], v60 offset:54656                   // 00000000749C: DAECD580 B600003C
	ds_read_b64 a[184:185], v60 offset:55552                   // 0000000074A4: DAECD900 B800003C
	ds_read_b64 a[186:187], v60 offset:55680                   // 0000000074AC: DAECD980 BA00003C
	ds_read_b64 a[188:189], v60 offset:56576                   // 0000000074B4: DAECDD00 BC00003C
	ds_read_b64 a[190:191], v60 offset:56704                   // 0000000074BC: DAECDD80 BE00003C
	v_lshlrev_b32_e32 v60, 2, v0                               // 0000000074C4: 24780082
	s_mul_i32 s56, s78, s67                                    // 0000000074C8: 9238434E
	v_add_u32_e64 v96, v60, s56                                // 0000000074CC: D1340060 0000713C
	v_mov_b32_e32 v97, 0                                       // 0000000074D4: 7EC20280
	s_mul_i32 s56, s79, s67                                    // 0000000074D8: 9238434F
	v_add_u32_e64 v98, v60, s56                                // 0000000074DC: D1340062 0000713C
	v_mov_b32_e32 v99, 0                                       // 0000000074E4: 7EC60280
	s_mul_i32 s56, s80, s67                                    // 0000000074E8: 92384350
	v_add_u32_e64 v100, v60, s56                               // 0000000074EC: D1340064 0000713C
	v_mov_b32_e32 v101, 0                                      // 0000000074F4: 7ECA0280
	s_mul_i32 s56, s81, s67                                    // 0000000074F8: 92384351
	v_add_u32_e64 v102, v60, s56                               // 0000000074FC: D1340066 0000713C
	v_mov_b32_e32 v103, 0                                      // 000000007504: 7ECE0280
	s_mul_i32 s56, s82, s67                                    // 000000007508: 92384352
	v_add_u32_e64 v104, v60, s56                               // 00000000750C: D1340068 0000713C
	v_mov_b32_e32 v105, 0                                      // 000000007514: 7ED20280
	s_mul_i32 s56, s83, s67                                    // 000000007518: 92384353
	v_add_u32_e64 v106, v60, s56                               // 00000000751C: D134006A 0000713C
	v_mov_b32_e32 v107, 0                                      // 000000007524: 7ED60280
	s_mul_i32 s56, s84, s67                                    // 000000007528: 92384354
	v_add_u32_e64 v108, v60, s56                               // 00000000752C: D134006C 0000713C
	v_mov_b32_e32 v109, 0                                      // 000000007534: 7EDA0280
	s_mul_i32 s56, s85, s67                                    // 000000007538: 92384355
	v_add_u32_e64 v110, v60, s56                               // 00000000753C: D134006E 0000713C
	v_mov_b32_e32 v111, 0                                      // 000000007544: 7EDE0280
	s_mul_i32 s56, s86, s67                                    // 000000007548: 92384356
	v_add_u32_e64 v112, v60, s56                               // 00000000754C: D1340070 0000713C
	v_mov_b32_e32 v113, 0                                      // 000000007554: 7EE20280
	s_mul_i32 s56, s87, s67                                    // 000000007558: 92384357
	v_add_u32_e64 v114, v60, s56                               // 00000000755C: D1340072 0000713C
	v_mov_b32_e32 v115, 0                                      // 000000007564: 7EE60280
	s_mul_i32 s56, s88, s67                                    // 000000007568: 92384358
	v_add_u32_e64 v116, v60, s56                               // 00000000756C: D1340074 0000713C
	v_mov_b32_e32 v117, 0                                      // 000000007574: 7EEA0280
	s_mul_i32 s56, s89, s67                                    // 000000007578: 92384359
	v_add_u32_e64 v118, v60, s56                               // 00000000757C: D1340076 0000713C
	v_mov_b32_e32 v119, 0                                      // 000000007584: 7EEE0280
	s_mul_i32 s56, s90, s67                                    // 000000007588: 9238435A
	v_add_u32_e64 v120, v60, s56                               // 00000000758C: D1340078 0000713C
	v_mov_b32_e32 v121, 0                                      // 000000007594: 7EF20280
	s_mul_i32 s56, s91, s67                                    // 000000007598: 9238435B
	v_add_u32_e64 v122, v60, s56                               // 00000000759C: D134007A 0000713C
	v_mov_b32_e32 v123, 0                                      // 0000000075A4: 7EF60280
	s_mul_i32 s56, s92, s67                                    // 0000000075A8: 9238435C
	v_add_u32_e64 v124, v60, s56                               // 0000000075AC: D134007C 0000713C
	v_mov_b32_e32 v125, 0                                      // 0000000075B4: 7EFA0280
	s_mul_i32 s56, s93, s67                                    // 0000000075B8: 9238435D
	v_add_u32_e64 v126, v60, s56                               // 0000000075BC: D134007E 0000713C
	v_mov_b32_e32 v127, 0                                      // 0000000075C4: 7EFE0280
	s_add_u32 s12, s52, s12                                    // 0000000075C8: 800C0C34
	s_addc_u32 s13, 0, s13                                     // 0000000075CC: 820D0D80
	s_add_u32 s16, s75, s16                                    // 0000000075D0: 8010104B
	s_addc_u32 s17, 0, s17                                     // 0000000075D4: 82111180
	s_mov_b32 s76, 0                                           // 0000000075D8: BECC0080
	s_waitcnt vmcnt(0) expcnt(0) lgkmcnt(0)                    // 0000000075DC: BF8C0000

00000000000075e0 <label_11F8>:
	s_waitcnt vmcnt(12)                                        // 0000000075E0: BF8C0F7C
	s_barrier                                                  // 0000000075E4: BF8A0000
	v_mfma_f32_16x16x32_fp8_fp8 v[128:131], a[0:1], a[128:129], 0// 0000000075E8: D3F30080 1A030100
	v_mfma_f32_16x16x32_fp8_fp8 v[128:131], a[2:3], a[130:131], v[128:131]// 0000000075F0: D3F30080 1E030502
	buffer_load_dwordx4 a[64:67], v51, s[12:15], 0 offen       // 0000000075F8: E05C1000 80834033
	v_mfma_f32_16x16x32_fp8_fp8 v[132:135], a[0:1], a[144:145], 0// 000000007600: D3F30084 1A032100
	v_mfma_f32_16x16x32_fp8_fp8 v[132:135], a[2:3], a[146:147], v[132:135]// 000000007608: D3F30084 1E132502
	buffer_load_dword v38, v8, s[16:19], 0 offen               // 000000007610: E0501000 80042608
	v_mfma_f32_16x16x32_fp8_fp8 v[136:139], a[0:1], a[160:161], 0// 000000007618: D3F30088 1A034100
	v_mfma_f32_16x16x32_fp8_fp8 v[136:139], a[2:3], a[162:163], v[136:139]// 000000007620: D3F30088 1E234502
	buffer_load_dwordx4 a[68:71], v52, s[12:15], 0 offen       // 000000007628: E05C1000 80834434
	v_mfma_f32_16x16x32_fp8_fp8 v[140:143], a[0:1], a[176:177], 0// 000000007630: D3F3008C 1A036100
	v_mfma_f32_16x16x32_fp8_fp8 v[140:143], a[2:3], a[178:179], v[140:143]// 000000007638: D3F3008C 1E336502
	v_mfma_f32_16x16x32_fp8_fp8 v[144:147], a[4:5], a[128:129], 0// 000000007640: D3F30090 1A030104
	v_mfma_f32_16x16x32_fp8_fp8 v[144:147], a[6:7], a[130:131], v[144:147]// 000000007648: D3F30090 1E430506
	buffer_load_dwordx4 a[72:75], v53, s[12:15], 0 offen       // 000000007650: E05C1000 80834835
	v_mfma_f32_16x16x32_fp8_fp8 v[148:151], a[4:5], a[144:145], 0// 000000007658: D3F30094 1A032104
	v_mfma_f32_16x16x32_fp8_fp8 v[148:151], a[6:7], a[146:147], v[148:151]// 000000007660: D3F30094 1E532506
	v_mfma_f32_16x16x32_fp8_fp8 v[152:155], a[4:5], a[160:161], 0// 000000007668: D3F30098 1A034104
	v_mfma_f32_16x16x32_fp8_fp8 v[152:155], a[6:7], a[162:163], v[152:155]// 000000007670: D3F30098 1E634506
	buffer_load_dwordx4 a[76:79], v54, s[12:15], 0 offen       // 000000007678: E05C1000 80834C36
	s_add_u32 s12, s74, s12                                    // 000000007680: 800C0C4A
	s_addc_u32 s13, 0, s13                                     // 000000007684: 820D0D80
	v_mfma_f32_16x16x32_fp8_fp8 v[156:159], a[4:5], a[176:177], 0// 000000007688: D3F3009C 1A036104
	v_mfma_f32_16x16x32_fp8_fp8 v[156:159], a[6:7], a[178:179], v[156:159]// 000000007690: D3F3009C 1E736506
	s_waitcnt vmcnt(13)                                        // 000000007698: BF8C0F7D
	v_mfma_f32_16x16x32_fp8_fp8 v[160:163], a[8:9], a[128:129], 0// 00000000769C: D3F300A0 1A030108
	v_mfma_f32_16x16x32_fp8_fp8 v[160:163], a[10:11], a[130:131], v[160:163]// 0000000076A4: D3F300A0 1E83050A
	buffer_load_dwordx4 a[80:83], v51, s[12:15], 0 offen       // 0000000076AC: E05C1000 80835033
	v_mfma_f32_16x16x32_fp8_fp8 v[164:167], a[8:9], a[144:145], 0// 0000000076B4: D3F300A4 1A032108
	v_mfma_f32_16x16x32_fp8_fp8 v[164:167], a[10:11], a[146:147], v[164:167]// 0000000076BC: D3F300A4 1E93250A
	v_mfma_f32_16x16x32_fp8_fp8 v[168:171], a[8:9], a[160:161], 0// 0000000076C4: D3F300A8 1A034108
	v_mfma_f32_16x16x32_fp8_fp8 v[168:171], a[10:11], a[162:163], v[168:171]// 0000000076CC: D3F300A8 1EA3450A
	buffer_load_dwordx4 a[84:87], v52, s[12:15], 0 offen       // 0000000076D4: E05C1000 80835434
	v_mfma_f32_16x16x32_fp8_fp8 v[172:175], a[8:9], a[176:177], 0// 0000000076DC: D3F300AC 1A036108
	v_mfma_f32_16x16x32_fp8_fp8 v[172:175], a[10:11], a[178:179], v[172:175]// 0000000076E4: D3F300AC 1EB3650A
	v_mfma_f32_16x16x32_fp8_fp8 v[176:179], a[12:13], a[128:129], 0// 0000000076EC: D3F300B0 1A03010C
	v_mfma_f32_16x16x32_fp8_fp8 v[176:179], a[14:15], a[130:131], v[176:179]// 0000000076F4: D3F300B0 1EC3050E
	buffer_load_dwordx4 a[88:91], v53, s[12:15], 0 offen       // 0000000076FC: E05C1000 80835835
	v_mfma_f32_16x16x32_fp8_fp8 v[180:183], a[12:13], a[144:145], 0// 000000007704: D3F300B4 1A03210C
	v_mfma_f32_16x16x32_fp8_fp8 v[180:183], a[14:15], a[146:147], v[180:183]// 00000000770C: D3F300B4 1ED3250E
	v_mfma_f32_16x16x32_fp8_fp8 v[184:187], a[12:13], a[160:161], 0// 000000007714: D3F300B8 1A03410C
	v_mfma_f32_16x16x32_fp8_fp8 v[184:187], a[14:15], a[162:163], v[184:187]// 00000000771C: D3F300B8 1EE3450E
	buffer_load_dwordx4 a[92:95], v54, s[12:15], 0 offen       // 000000007724: E05C1000 80835C36
	s_add_u32 s12, s74, s12                                    // 00000000772C: 800C0C4A
	s_addc_u32 s13, 0, s13                                     // 000000007730: 820D0D80
	v_mfma_f32_16x16x32_fp8_fp8 v[188:191], a[12:13], a[176:177], 0// 000000007734: D3F300BC 1A03610C
	v_mfma_f32_16x16x32_fp8_fp8 v[188:191], a[14:15], a[178:179], v[188:191]// 00000000773C: D3F300BC 1EF3650E
	s_waitcnt vmcnt(13)                                        // 000000007744: BF8C0F7D
	v_mfma_f32_16x16x32_fp8_fp8 v[128:131], a[16:17], a[132:133], v[128:131]// 000000007748: D3F30080 1E030910
	v_mfma_f32_16x16x32_fp8_fp8 v[128:131], a[18:19], a[134:135], v[128:131]// 000000007750: D3F30080 1E030D12
	buffer_load_dwordx4 a[96:99], v51, s[12:15], 0 offen       // 000000007758: E05C1000 80836033
	v_mfma_f32_16x16x32_fp8_fp8 v[132:135], a[16:17], a[148:149], v[132:135]// 000000007760: D3F30084 1E132910
	v_mfma_f32_16x16x32_fp8_fp8 v[132:135], a[18:19], a[150:151], v[132:135]// 000000007768: D3F30084 1E132D12
	v_mfma_f32_16x16x32_fp8_fp8 v[136:139], a[16:17], a[164:165], v[136:139]// 000000007770: D3F30088 1E234910
	v_mfma_f32_16x16x32_fp8_fp8 v[136:139], a[18:19], a[166:167], v[136:139]// 000000007778: D3F30088 1E234D12
	buffer_load_dwordx4 a[100:103], v52, s[12:15], 0 offen     // 000000007780: E05C1000 80836434
	v_mfma_f32_16x16x32_fp8_fp8 v[140:143], a[16:17], a[180:181], v[140:143]// 000000007788: D3F3008C 1E336910
	v_mfma_f32_16x16x32_fp8_fp8 v[140:143], a[18:19], a[182:183], v[140:143]// 000000007790: D3F3008C 1E336D12
	v_mfma_f32_16x16x32_fp8_fp8 v[144:147], a[20:21], a[132:133], v[144:147]// 000000007798: D3F30090 1E430914
	v_mfma_f32_16x16x32_fp8_fp8 v[144:147], a[22:23], a[134:135], v[144:147]// 0000000077A0: D3F30090 1E430D16
	buffer_load_dwordx4 a[104:107], v53, s[12:15], 0 offen     // 0000000077A8: E05C1000 80836835
	v_mfma_f32_16x16x32_fp8_fp8 v[148:151], a[20:21], a[148:149], v[148:151]// 0000000077B0: D3F30094 1E532914
	v_mfma_f32_16x16x32_fp8_fp8 v[148:151], a[22:23], a[150:151], v[148:151]// 0000000077B8: D3F30094 1E532D16
	v_mfma_f32_16x16x32_fp8_fp8 v[152:155], a[20:21], a[164:165], v[152:155]// 0000000077C0: D3F30098 1E634914
	v_mfma_f32_16x16x32_fp8_fp8 v[152:155], a[22:23], a[166:167], v[152:155]// 0000000077C8: D3F30098 1E634D16
	buffer_load_dwordx4 a[108:111], v54, s[12:15], 0 offen     // 0000000077D0: E05C1000 80836C36
	s_add_u32 s12, s74, s12                                    // 0000000077D8: 800C0C4A
	s_addc_u32 s13, 0, s13                                     // 0000000077DC: 820D0D80
	v_mfma_f32_16x16x32_fp8_fp8 v[156:159], a[20:21], a[180:181], v[156:159]// 0000000077E0: D3F3009C 1E736914
	v_mfma_f32_16x16x32_fp8_fp8 v[156:159], a[22:23], a[182:183], v[156:159]// 0000000077E8: D3F3009C 1E736D16
	s_waitcnt vmcnt(13)                                        // 0000000077F0: BF8C0F7D
	v_mfma_f32_16x16x32_fp8_fp8 v[160:163], a[24:25], a[132:133], v[160:163]// 0000000077F4: D3F300A0 1E830918
	v_mfma_f32_16x16x32_fp8_fp8 v[160:163], a[26:27], a[134:135], v[160:163]// 0000000077FC: D3F300A0 1E830D1A
	buffer_load_dwordx4 a[112:115], v51, s[12:15], 0 offen     // 000000007804: E05C1000 80837033
	v_mfma_f32_16x16x32_fp8_fp8 v[164:167], a[24:25], a[148:149], v[164:167]// 00000000780C: D3F300A4 1E932918
	v_mfma_f32_16x16x32_fp8_fp8 v[164:167], a[26:27], a[150:151], v[164:167]// 000000007814: D3F300A4 1E932D1A
	v_mfma_f32_16x16x32_fp8_fp8 v[168:171], a[24:25], a[164:165], v[168:171]// 00000000781C: D3F300A8 1EA34918
	v_mfma_f32_16x16x32_fp8_fp8 v[168:171], a[26:27], a[166:167], v[168:171]// 000000007824: D3F300A8 1EA34D1A
	buffer_load_dwordx4 a[116:119], v52, s[12:15], 0 offen     // 00000000782C: E05C1000 80837434
	v_mfma_f32_16x16x32_fp8_fp8 v[172:175], a[24:25], a[180:181], v[172:175]// 000000007834: D3F300AC 1EB36918
	v_mfma_f32_16x16x32_fp8_fp8 v[172:175], a[26:27], a[182:183], v[172:175]// 00000000783C: D3F300AC 1EB36D1A
	v_mfma_f32_16x16x32_fp8_fp8 v[176:179], a[28:29], a[132:133], v[176:179]// 000000007844: D3F300B0 1EC3091C
	v_mfma_f32_16x16x32_fp8_fp8 v[176:179], a[30:31], a[134:135], v[176:179]// 00000000784C: D3F300B0 1EC30D1E
	buffer_load_dwordx4 a[120:123], v53, s[12:15], 0 offen     // 000000007854: E05C1000 80837835
	v_mfma_f32_16x16x32_fp8_fp8 v[180:183], a[28:29], a[148:149], v[180:183]// 00000000785C: D3F300B4 1ED3291C
	v_mfma_f32_16x16x32_fp8_fp8 v[180:183], a[30:31], a[150:151], v[180:183]// 000000007864: D3F300B4 1ED32D1E
	v_mfma_f32_16x16x32_fp8_fp8 v[184:187], a[28:29], a[164:165], v[184:187]// 00000000786C: D3F300B8 1EE3491C
	v_mfma_f32_16x16x32_fp8_fp8 v[184:187], a[30:31], a[166:167], v[184:187]// 000000007874: D3F300B8 1EE34D1E
	buffer_load_dwordx4 a[124:127], v54, s[12:15], 0 offen     // 00000000787C: E05C1000 80837C36
	v_mfma_f32_16x16x32_fp8_fp8 v[188:191], a[28:29], a[180:181], v[188:191]// 000000007884: D3F300BC 1EF3691C
	v_mfma_f32_16x16x32_fp8_fp8 v[188:191], a[30:31], a[182:183], v[188:191]// 00000000788C: D3F300BC 1EF36D1E
	v_mul_f32_dpp v60, v37, v21 row_newbcast:0 row_mask:0xf bank_mask:0xf// 000000007894: 0A782AFA FF015025
	v_mov_b32_e32 v61, v60                                     // 00000000789C: 7E7A033C
	v_pk_mul_f32 v[128:129], v[60:61], v[128:129]              // 0000000078A0: D3B14080 1803013C
	v_pk_mul_f32 v[130:131], v[60:61], v[130:131]              // 0000000078A8: D3B14082 1803053C
	v_pk_mul_f32 v[144:145], v[60:61], v[144:145]              // 0000000078B0: D3B14090 1803213C
	v_pk_mul_f32 v[146:147], v[60:61], v[146:147]              // 0000000078B8: D3B14092 1803253C
	v_mul_f32_dpp v60, v37, v21 row_newbcast:1 row_mask:0xf bank_mask:0xf// 0000000078C0: 0A782AFA FF015125
	v_mov_b32_e32 v61, v60                                     // 0000000078C8: 7E7A033C
	v_pk_mul_f32 v[160:161], v[60:61], v[160:161]              // 0000000078CC: D3B140A0 1803413C
	v_pk_mul_f32 v[162:163], v[60:61], v[162:163]              // 0000000078D4: D3B140A2 1803453C
	v_pk_mul_f32 v[176:177], v[60:61], v[176:177]              // 0000000078DC: D3B140B0 1803613C
	v_pk_mul_f32 v[178:179], v[60:61], v[178:179]              // 0000000078E4: D3B140B2 1803653C
	v_mul_f32_dpp v60, v37, v22 row_newbcast:0 row_mask:0xf bank_mask:0xf// 0000000078EC: 0A782CFA FF015025
	v_mov_b32_e32 v61, v60                                     // 0000000078F4: 7E7A033C
	v_pk_mul_f32 v[132:133], v[60:61], v[132:133]              // 0000000078F8: D3B14084 1803093C
	v_pk_mul_f32 v[134:135], v[60:61], v[134:135]              // 000000007900: D3B14086 18030D3C
	v_pk_mul_f32 v[148:149], v[60:61], v[148:149]              // 000000007908: D3B14094 1803293C
	v_pk_mul_f32 v[150:151], v[60:61], v[150:151]              // 000000007910: D3B14096 18032D3C
	v_mul_f32_dpp v60, v37, v22 row_newbcast:1 row_mask:0xf bank_mask:0xf// 000000007918: 0A782CFA FF015125
	v_mov_b32_e32 v61, v60                                     // 000000007920: 7E7A033C
	v_pk_mul_f32 v[164:165], v[60:61], v[164:165]              // 000000007924: D3B140A4 1803493C
	v_pk_mul_f32 v[166:167], v[60:61], v[166:167]              // 00000000792C: D3B140A6 18034D3C
	v_pk_mul_f32 v[180:181], v[60:61], v[180:181]              // 000000007934: D3B140B4 1803693C
	v_pk_mul_f32 v[182:183], v[60:61], v[182:183]              // 00000000793C: D3B140B6 18036D3C
	v_mul_f32_dpp v60, v37, v23 row_newbcast:0 row_mask:0xf bank_mask:0xf// 000000007944: 0A782EFA FF015025
	v_mov_b32_e32 v61, v60                                     // 00000000794C: 7E7A033C
	v_pk_mul_f32 v[136:137], v[60:61], v[136:137]              // 000000007950: D3B14088 1803113C
	v_pk_mul_f32 v[138:139], v[60:61], v[138:139]              // 000000007958: D3B1408A 1803153C
	v_pk_mul_f32 v[152:153], v[60:61], v[152:153]              // 000000007960: D3B14098 1803313C
	v_pk_mul_f32 v[154:155], v[60:61], v[154:155]              // 000000007968: D3B1409A 1803353C
	v_mul_f32_dpp v60, v37, v23 row_newbcast:1 row_mask:0xf bank_mask:0xf// 000000007970: 0A782EFA FF015125
	v_mov_b32_e32 v61, v60                                     // 000000007978: 7E7A033C
	v_pk_mul_f32 v[168:169], v[60:61], v[168:169]              // 00000000797C: D3B140A8 1803513C
	v_pk_mul_f32 v[170:171], v[60:61], v[170:171]              // 000000007984: D3B140AA 1803553C
	v_pk_mul_f32 v[184:185], v[60:61], v[184:185]              // 00000000798C: D3B140B8 1803713C
	v_pk_mul_f32 v[186:187], v[60:61], v[186:187]              // 000000007994: D3B140BA 1803753C
	v_mul_f32_dpp v60, v37, v24 row_newbcast:0 row_mask:0xf bank_mask:0xf// 00000000799C: 0A7830FA FF015025
	v_mov_b32_e32 v61, v60                                     // 0000000079A4: 7E7A033C
	v_pk_mul_f32 v[140:141], v[60:61], v[140:141]              // 0000000079A8: D3B1408C 1803193C
	v_pk_mul_f32 v[142:143], v[60:61], v[142:143]              // 0000000079B0: D3B1408E 18031D3C
	v_pk_mul_f32 v[156:157], v[60:61], v[156:157]              // 0000000079B8: D3B1409C 1803393C
	v_pk_mul_f32 v[158:159], v[60:61], v[158:159]              // 0000000079C0: D3B1409E 18033D3C
	v_mul_f32_dpp v60, v37, v24 row_newbcast:1 row_mask:0xf bank_mask:0xf// 0000000079C8: 0A7830FA FF015125
	v_mov_b32_e32 v61, v60                                     // 0000000079D0: 7E7A033C
	v_pk_mul_f32 v[172:173], v[60:61], v[172:173]              // 0000000079D4: D3B140AC 1803593C
	v_pk_mul_f32 v[174:175], v[60:61], v[174:175]              // 0000000079DC: D3B140AE 18035D3C
	v_pk_mul_f32 v[188:189], v[60:61], v[188:189]              // 0000000079E4: D3B140BC 1803793C
	v_pk_mul_f32 v[190:191], v[60:61], v[190:191]              // 0000000079EC: D3B140BE 18037D3C
	s_waitcnt vmcnt(13)                                        // 0000000079F4: BF8C0F7D
	v_mfma_f32_16x16x32_fp8_fp8 v[192:195], a[32:33], a[136:137], 0// 0000000079F8: D3F300C0 1A031120
	v_mfma_f32_16x16x32_fp8_fp8 v[192:195], a[34:35], a[138:139], v[192:195]// 000000007A00: D3F300C0 1F031522
	v_mfma_f32_16x16x32_fp8_fp8 v[196:199], a[32:33], a[152:153], 0// 000000007A08: D3F300C4 1A033120
	v_mfma_f32_16x16x32_fp8_fp8 v[196:199], a[34:35], a[154:155], v[196:199]// 000000007A10: D3F300C4 1F133522
	v_mfma_f32_16x16x32_fp8_fp8 v[200:203], a[32:33], a[168:169], 0// 000000007A18: D3F300C8 1A035120
	v_mfma_f32_16x16x32_fp8_fp8 v[200:203], a[34:35], a[170:171], v[200:203]// 000000007A20: D3F300C8 1F235522
	v_mfma_f32_16x16x32_fp8_fp8 v[204:207], a[32:33], a[184:185], 0// 000000007A28: D3F300CC 1A037120
	v_mfma_f32_16x16x32_fp8_fp8 v[204:207], a[34:35], a[186:187], v[204:207]// 000000007A30: D3F300CC 1F337522
	v_mfma_f32_16x16x32_fp8_fp8 v[208:211], a[36:37], a[136:137], 0// 000000007A38: D3F300D0 1A031124
	v_mfma_f32_16x16x32_fp8_fp8 v[208:211], a[38:39], a[138:139], v[208:211]// 000000007A40: D3F300D0 1F431526
	v_mfma_f32_16x16x32_fp8_fp8 v[212:215], a[36:37], a[152:153], 0// 000000007A48: D3F300D4 1A033124
	v_mfma_f32_16x16x32_fp8_fp8 v[212:215], a[38:39], a[154:155], v[212:215]// 000000007A50: D3F300D4 1F533526
	v_mfma_f32_16x16x32_fp8_fp8 v[216:219], a[36:37], a[168:169], 0// 000000007A58: D3F300D8 1A035124
	v_mfma_f32_16x16x32_fp8_fp8 v[216:219], a[38:39], a[170:171], v[216:219]// 000000007A60: D3F300D8 1F635526
	v_mfma_f32_16x16x32_fp8_fp8 v[220:223], a[36:37], a[184:185], 0// 000000007A68: D3F300DC 1A037124
	v_mfma_f32_16x16x32_fp8_fp8 v[220:223], a[38:39], a[186:187], v[220:223]// 000000007A70: D3F300DC 1F737526
	s_waitcnt vmcnt(13)                                        // 000000007A78: BF8C0F7D
	v_mfma_f32_16x16x32_fp8_fp8 v[224:227], a[40:41], a[136:137], 0// 000000007A7C: D3F300E0 1A031128
	v_mfma_f32_16x16x32_fp8_fp8 v[224:227], a[42:43], a[138:139], v[224:227]// 000000007A84: D3F300E0 1F83152A
	v_mfma_f32_16x16x32_fp8_fp8 v[228:231], a[40:41], a[152:153], 0// 000000007A8C: D3F300E4 1A033128
	v_mfma_f32_16x16x32_fp8_fp8 v[228:231], a[42:43], a[154:155], v[228:231]// 000000007A94: D3F300E4 1F93352A
	v_mfma_f32_16x16x32_fp8_fp8 v[232:235], a[40:41], a[168:169], 0// 000000007A9C: D3F300E8 1A035128
	v_mfma_f32_16x16x32_fp8_fp8 v[232:235], a[42:43], a[170:171], v[232:235]// 000000007AA4: D3F300E8 1FA3552A
	v_mfma_f32_16x16x32_fp8_fp8 v[236:239], a[40:41], a[184:185], 0// 000000007AAC: D3F300EC 1A037128
	v_mfma_f32_16x16x32_fp8_fp8 v[236:239], a[42:43], a[186:187], v[236:239]// 000000007AB4: D3F300EC 1FB3752A
	v_mfma_f32_16x16x32_fp8_fp8 v[240:243], a[44:45], a[136:137], 0// 000000007ABC: D3F300F0 1A03112C
	v_mfma_f32_16x16x32_fp8_fp8 v[240:243], a[46:47], a[138:139], v[240:243]// 000000007AC4: D3F300F0 1FC3152E
	v_mfma_f32_16x16x32_fp8_fp8 v[244:247], a[44:45], a[152:153], 0// 000000007ACC: D3F300F4 1A03312C
	v_mfma_f32_16x16x32_fp8_fp8 v[244:247], a[46:47], a[154:155], v[244:247]// 000000007AD4: D3F300F4 1FD3352E
	v_mfma_f32_16x16x32_fp8_fp8 v[248:251], a[44:45], a[168:169], 0// 000000007ADC: D3F300F8 1A03512C
	v_mfma_f32_16x16x32_fp8_fp8 v[248:251], a[46:47], a[170:171], v[248:251]// 000000007AE4: D3F300F8 1FE3552E
	v_mfma_f32_16x16x32_fp8_fp8 v[252:255], a[44:45], a[184:185], 0// 000000007AEC: D3F300FC 1A03712C
	v_mfma_f32_16x16x32_fp8_fp8 v[252:255], a[46:47], a[186:187], v[252:255]// 000000007AF4: D3F300FC 1FF3752E
	s_waitcnt vmcnt(13)                                        // 000000007AFC: BF8C0F7D
	v_mfma_f32_16x16x32_fp8_fp8 v[192:195], a[48:49], a[140:141], v[192:195]// 000000007B00: D3F300C0 1F031930
	v_mfma_f32_16x16x32_fp8_fp8 v[192:195], a[50:51], a[142:143], v[192:195]// 000000007B08: D3F300C0 1F031D32
	v_mfma_f32_16x16x32_fp8_fp8 v[196:199], a[48:49], a[156:157], v[196:199]// 000000007B10: D3F300C4 1F133930
	v_mfma_f32_16x16x32_fp8_fp8 v[196:199], a[50:51], a[158:159], v[196:199]// 000000007B18: D3F300C4 1F133D32
	v_mfma_f32_16x16x32_fp8_fp8 v[200:203], a[48:49], a[172:173], v[200:203]// 000000007B20: D3F300C8 1F235930
	v_mfma_f32_16x16x32_fp8_fp8 v[200:203], a[50:51], a[174:175], v[200:203]// 000000007B28: D3F300C8 1F235D32
	v_mfma_f32_16x16x32_fp8_fp8 v[204:207], a[48:49], a[188:189], v[204:207]// 000000007B30: D3F300CC 1F337930
	v_mfma_f32_16x16x32_fp8_fp8 v[204:207], a[50:51], a[190:191], v[204:207]// 000000007B38: D3F300CC 1F337D32
	v_mfma_f32_16x16x32_fp8_fp8 v[208:211], a[52:53], a[140:141], v[208:211]// 000000007B40: D3F300D0 1F431934
	v_mfma_f32_16x16x32_fp8_fp8 v[208:211], a[54:55], a[142:143], v[208:211]// 000000007B48: D3F300D0 1F431D36
	v_mfma_f32_16x16x32_fp8_fp8 v[212:215], a[52:53], a[156:157], v[212:215]// 000000007B50: D3F300D4 1F533934
	v_mfma_f32_16x16x32_fp8_fp8 v[212:215], a[54:55], a[158:159], v[212:215]// 000000007B58: D3F300D4 1F533D36
	v_mfma_f32_16x16x32_fp8_fp8 v[216:219], a[52:53], a[172:173], v[216:219]// 000000007B60: D3F300D8 1F635934
	v_mfma_f32_16x16x32_fp8_fp8 v[216:219], a[54:55], a[174:175], v[216:219]// 000000007B68: D3F300D8 1F635D36
	v_mfma_f32_16x16x32_fp8_fp8 v[220:223], a[52:53], a[188:189], v[220:223]// 000000007B70: D3F300DC 1F737934
	v_mfma_f32_16x16x32_fp8_fp8 v[220:223], a[54:55], a[190:191], v[220:223]// 000000007B78: D3F300DC 1F737D36
	s_waitcnt vmcnt(13)                                        // 000000007B80: BF8C0F7D
	v_mfma_f32_16x16x32_fp8_fp8 v[224:227], a[56:57], a[140:141], v[224:227]// 000000007B84: D3F300E0 1F831938
	v_mfma_f32_16x16x32_fp8_fp8 v[224:227], a[58:59], a[142:143], v[224:227]// 000000007B8C: D3F300E0 1F831D3A
	v_mfma_f32_16x16x32_fp8_fp8 v[228:231], a[56:57], a[156:157], v[228:231]// 000000007B94: D3F300E4 1F933938
	v_mfma_f32_16x16x32_fp8_fp8 v[228:231], a[58:59], a[158:159], v[228:231]// 000000007B9C: D3F300E4 1F933D3A
	v_mfma_f32_16x16x32_fp8_fp8 v[232:235], a[56:57], a[172:173], v[232:235]// 000000007BA4: D3F300E8 1FA35938
	v_mfma_f32_16x16x32_fp8_fp8 v[232:235], a[58:59], a[174:175], v[232:235]// 000000007BAC: D3F300E8 1FA35D3A
	v_mfma_f32_16x16x32_fp8_fp8 v[236:239], a[56:57], a[188:189], v[236:239]// 000000007BB4: D3F300EC 1FB37938
	v_mfma_f32_16x16x32_fp8_fp8 v[236:239], a[58:59], a[190:191], v[236:239]// 000000007BBC: D3F300EC 1FB37D3A
	v_mfma_f32_16x16x32_fp8_fp8 v[240:243], a[60:61], a[140:141], v[240:243]// 000000007BC4: D3F300F0 1FC3193C
	v_mfma_f32_16x16x32_fp8_fp8 v[240:243], a[62:63], a[142:143], v[240:243]// 000000007BCC: D3F300F0 1FC31D3E
	v_mfma_f32_16x16x32_fp8_fp8 v[244:247], a[60:61], a[156:157], v[244:247]// 000000007BD4: D3F300F4 1FD3393C
	v_mfma_f32_16x16x32_fp8_fp8 v[244:247], a[62:63], a[158:159], v[244:247]// 000000007BDC: D3F300F4 1FD33D3E
	v_mfma_f32_16x16x32_fp8_fp8 v[248:251], a[60:61], a[172:173], v[248:251]// 000000007BE4: D3F300F8 1FE3593C
	v_mfma_f32_16x16x32_fp8_fp8 v[248:251], a[62:63], a[174:175], v[248:251]// 000000007BEC: D3F300F8 1FE35D3E
	v_mfma_f32_16x16x32_fp8_fp8 v[252:255], a[60:61], a[188:189], v[252:255]// 000000007BF4: D3F300FC 1FF3793C
	v_mfma_f32_16x16x32_fp8_fp8 v[252:255], a[62:63], a[190:191], v[252:255]// 000000007BFC: D3F300FC 1FF37D3E
	v_mul_f32_dpp v60, v37, v25 row_newbcast:2 row_mask:0xf bank_mask:0xf// 000000007C04: 0A7832FA FF015225
	v_mov_b32_e32 v61, v60                                     // 000000007C0C: 7E7A033C
	v_pk_fma_f32 v[128:129], v[192:193], v[60:61], v[128:129]  // 000000007C10: D3B04080 1E0279C0
	v_pk_fma_f32 v[130:131], v[194:195], v[60:61], v[130:131]  // 000000007C18: D3B04082 1E0A79C2
	v_pk_fma_f32 v[144:145], v[208:209], v[60:61], v[144:145]  // 000000007C20: D3B04090 1E4279D0
	v_pk_fma_f32 v[146:147], v[210:211], v[60:61], v[146:147]  // 000000007C28: D3B04092 1E4A79D2
	v_mul_f32_dpp v60, v37, v25 row_newbcast:3 row_mask:0xf bank_mask:0xf// 000000007C30: 0A7832FA FF015325
	v_mov_b32_e32 v61, v60                                     // 000000007C38: 7E7A033C
	v_pk_fma_f32 v[160:161], v[224:225], v[60:61], v[160:161]  // 000000007C3C: D3B040A0 1E8279E0
	v_pk_fma_f32 v[162:163], v[226:227], v[60:61], v[162:163]  // 000000007C44: D3B040A2 1E8A79E2
	v_pk_fma_f32 v[176:177], v[240:241], v[60:61], v[176:177]  // 000000007C4C: D3B040B0 1EC279F0
	v_pk_fma_f32 v[178:179], v[242:243], v[60:61], v[178:179]  // 000000007C54: D3B040B2 1ECA79F2
	v_mul_f32_dpp v60, v37, v26 row_newbcast:2 row_mask:0xf bank_mask:0xf// 000000007C5C: 0A7834FA FF015225
	v_mov_b32_e32 v61, v60                                     // 000000007C64: 7E7A033C
	v_pk_fma_f32 v[132:133], v[196:197], v[60:61], v[132:133]  // 000000007C68: D3B04084 1E1279C4
	v_pk_fma_f32 v[134:135], v[198:199], v[60:61], v[134:135]  // 000000007C70: D3B04086 1E1A79C6
	v_pk_fma_f32 v[148:149], v[212:213], v[60:61], v[148:149]  // 000000007C78: D3B04094 1E5279D4
	v_pk_fma_f32 v[150:151], v[214:215], v[60:61], v[150:151]  // 000000007C80: D3B04096 1E5A79D6
	v_mul_f32_dpp v60, v37, v26 row_newbcast:3 row_mask:0xf bank_mask:0xf// 000000007C88: 0A7834FA FF015325
	v_mov_b32_e32 v61, v60                                     // 000000007C90: 7E7A033C
	v_pk_fma_f32 v[164:165], v[228:229], v[60:61], v[164:165]  // 000000007C94: D3B040A4 1E9279E4
	v_pk_fma_f32 v[166:167], v[230:231], v[60:61], v[166:167]  // 000000007C9C: D3B040A6 1E9A79E6
	v_pk_fma_f32 v[180:181], v[244:245], v[60:61], v[180:181]  // 000000007CA4: D3B040B4 1ED279F4
	v_pk_fma_f32 v[182:183], v[246:247], v[60:61], v[182:183]  // 000000007CAC: D3B040B6 1EDA79F6
	v_mul_f32_dpp v60, v37, v27 row_newbcast:2 row_mask:0xf bank_mask:0xf// 000000007CB4: 0A7836FA FF015225
	v_mov_b32_e32 v61, v60                                     // 000000007CBC: 7E7A033C
	v_pk_fma_f32 v[136:137], v[200:201], v[60:61], v[136:137]  // 000000007CC0: D3B04088 1E2279C8
	v_pk_fma_f32 v[138:139], v[202:203], v[60:61], v[138:139]  // 000000007CC8: D3B0408A 1E2A79CA
	v_pk_fma_f32 v[152:153], v[216:217], v[60:61], v[152:153]  // 000000007CD0: D3B04098 1E6279D8
	v_pk_fma_f32 v[154:155], v[218:219], v[60:61], v[154:155]  // 000000007CD8: D3B0409A 1E6A79DA
	v_mul_f32_dpp v60, v37, v27 row_newbcast:3 row_mask:0xf bank_mask:0xf// 000000007CE0: 0A7836FA FF015325
	v_mov_b32_e32 v61, v60                                     // 000000007CE8: 7E7A033C
	v_pk_fma_f32 v[168:169], v[232:233], v[60:61], v[168:169]  // 000000007CEC: D3B040A8 1EA279E8
	v_pk_fma_f32 v[170:171], v[234:235], v[60:61], v[170:171]  // 000000007CF4: D3B040AA 1EAA79EA
	v_pk_fma_f32 v[184:185], v[248:249], v[60:61], v[184:185]  // 000000007CFC: D3B040B8 1EE279F8
	v_pk_fma_f32 v[186:187], v[250:251], v[60:61], v[186:187]  // 000000007D04: D3B040BA 1EEA79FA
	v_mul_f32_dpp v60, v37, v28 row_newbcast:2 row_mask:0xf bank_mask:0xf// 000000007D0C: 0A7838FA FF015225
	v_mov_b32_e32 v61, v60                                     // 000000007D14: 7E7A033C
	v_pk_fma_f32 v[140:141], v[204:205], v[60:61], v[140:141]  // 000000007D18: D3B0408C 1E3279CC
	v_pk_fma_f32 v[142:143], v[206:207], v[60:61], v[142:143]  // 000000007D20: D3B0408E 1E3A79CE
	v_pk_fma_f32 v[156:157], v[220:221], v[60:61], v[156:157]  // 000000007D28: D3B0409C 1E7279DC
	v_pk_fma_f32 v[158:159], v[222:223], v[60:61], v[158:159]  // 000000007D30: D3B0409E 1E7A79DE
	v_mul_f32_dpp v60, v37, v28 row_newbcast:3 row_mask:0xf bank_mask:0xf// 000000007D38: 0A7838FA FF015325
	v_mov_b32_e32 v61, v60                                     // 000000007D40: 7E7A033C
	v_pk_fma_f32 v[172:173], v[236:237], v[60:61], v[172:173]  // 000000007D44: D3B040AC 1EB279EC
	v_pk_fma_f32 v[174:175], v[238:239], v[60:61], v[174:175]  // 000000007D4C: D3B040AE 1EBA79EE
	v_pk_fma_f32 v[188:189], v[252:253], v[60:61], v[188:189]  // 000000007D54: D3B040BC 1EF279FC
	v_pk_fma_f32 v[190:191], v[254:255], v[60:61], v[190:191]  // 000000007D5C: D3B040BE 1EFA79FE
	s_add_u32 s56, 0x200, s76                                  // 000000007D64: 80384CFF 00000200
	s_cmp_lt_u32 s56, s77                                      // 000000007D6C: BF0A4D38
	s_cselect_b32 s52, s52, 0                                  // 000000007D70: 85348034
	s_cselect_b32 s74, s74, 0                                  // 000000007D74: 854A804A
	s_cselect_b32 s75, s75, 0                                  // 000000007D78: 854B804B
	s_add_u32 s12, s52, s12                                    // 000000007D7C: 800C0C34
	s_addc_u32 s13, 0, s13                                     // 000000007D80: 820D0D80
	s_add_u32 s16, s75, s16                                    // 000000007D84: 8010104B
	s_addc_u32 s17, 0, s17                                     // 000000007D88: 82111180
	v_mov_b32_e32 v60, v39                                     // 000000007D8C: 7E780327
	v_mov_b32_e32 v61, v39                                     // 000000007D90: 7E7A0327
	v_pk_mul_f32 v[128:129], v[60:61], v[128:129]              // 000000007D94: D3B14080 1803013C
	v_pk_mul_f32 v[130:131], v[60:61], v[130:131]              // 000000007D9C: D3B14082 1803053C
	v_pk_mul_f32 v[144:145], v[60:61], v[144:145]              // 000000007DA4: D3B14090 1803213C
	v_pk_mul_f32 v[146:147], v[60:61], v[146:147]              // 000000007DAC: D3B14092 1803253C
	v_pk_mul_f32 v[160:161], v[60:61], v[160:161]              // 000000007DB4: D3B140A0 1803413C
	v_pk_mul_f32 v[162:163], v[60:61], v[162:163]              // 000000007DBC: D3B140A2 1803453C
	v_pk_mul_f32 v[176:177], v[60:61], v[176:177]              // 000000007DC4: D3B140B0 1803613C
	v_pk_mul_f32 v[178:179], v[60:61], v[178:179]              // 000000007DCC: D3B140B2 1803653C
	v_mov_b32_e32 v60, v40                                     // 000000007DD4: 7E780328
	v_mov_b32_e32 v61, v40                                     // 000000007DD8: 7E7A0328
	v_pk_mul_f32 v[132:133], v[60:61], v[132:133]              // 000000007DDC: D3B14084 1803093C
	v_pk_mul_f32 v[134:135], v[60:61], v[134:135]              // 000000007DE4: D3B14086 18030D3C
	v_pk_mul_f32 v[148:149], v[60:61], v[148:149]              // 000000007DEC: D3B14094 1803293C
	v_pk_mul_f32 v[150:151], v[60:61], v[150:151]              // 000000007DF4: D3B14096 18032D3C
	v_pk_mul_f32 v[164:165], v[60:61], v[164:165]              // 000000007DFC: D3B140A4 1803493C
	v_pk_mul_f32 v[166:167], v[60:61], v[166:167]              // 000000007E04: D3B140A6 18034D3C
	v_pk_mul_f32 v[180:181], v[60:61], v[180:181]              // 000000007E0C: D3B140B4 1803693C
	v_pk_mul_f32 v[182:183], v[60:61], v[182:183]              // 000000007E14: D3B140B6 18036D3C
	v_mov_b32_e32 v60, v41                                     // 000000007E1C: 7E780329
	v_mov_b32_e32 v61, v41                                     // 000000007E20: 7E7A0329
	v_pk_mul_f32 v[136:137], v[60:61], v[136:137]              // 000000007E24: D3B14088 1803113C
	v_pk_mul_f32 v[138:139], v[60:61], v[138:139]              // 000000007E2C: D3B1408A 1803153C
	v_pk_mul_f32 v[152:153], v[60:61], v[152:153]              // 000000007E34: D3B14098 1803313C
	v_pk_mul_f32 v[154:155], v[60:61], v[154:155]              // 000000007E3C: D3B1409A 1803353C
	v_pk_mul_f32 v[168:169], v[60:61], v[168:169]              // 000000007E44: D3B140A8 1803513C
	v_pk_mul_f32 v[170:171], v[60:61], v[170:171]              // 000000007E4C: D3B140AA 1803553C
	v_pk_mul_f32 v[184:185], v[60:61], v[184:185]              // 000000007E54: D3B140B8 1803713C
	v_pk_mul_f32 v[186:187], v[60:61], v[186:187]              // 000000007E5C: D3B140BA 1803753C
	v_mov_b32_e32 v60, v42                                     // 000000007E64: 7E78032A
	v_mov_b32_e32 v61, v42                                     // 000000007E68: 7E7A032A
	v_pk_mul_f32 v[140:141], v[60:61], v[140:141]              // 000000007E6C: D3B1408C 1803193C
	v_pk_mul_f32 v[142:143], v[60:61], v[142:143]              // 000000007E74: D3B1408E 18031D3C
	v_pk_mul_f32 v[156:157], v[60:61], v[156:157]              // 000000007E7C: D3B1409C 1803393C
	v_pk_mul_f32 v[158:159], v[60:61], v[158:159]              // 000000007E84: D3B1409E 18033D3C
	v_pk_mul_f32 v[172:173], v[60:61], v[172:173]              // 000000007E8C: D3B140AC 1803593C
	v_pk_mul_f32 v[174:175], v[60:61], v[174:175]              // 000000007E94: D3B140AE 18035D3C
	v_pk_mul_f32 v[188:189], v[60:61], v[188:189]              // 000000007E9C: D3B140BC 1803793C
	v_pk_mul_f32 v[190:191], v[60:61], v[190:191]              // 000000007EA4: D3B140BE 18037D3C
	s_mov_b32 s56, 0x7060302                                   // 000000007EAC: BEB800FF 07060302
	v_cmp_u_f32_e64 s[48:49], v128, v128                       // 000000007EB4: D0480030 00030180
	v_add3_u32 v55, v128, v58, 1                               // 000000007EBC: D1FF0037 02067580
	v_cndmask_b32_e64 v60, v55, v57, s[48:49]                  // 000000007EC4: D100003C 00C27337
	v_cmp_u_f32_e64 s[48:49], v129, v129                       // 000000007ECC: D0480030 00030381
	v_add3_u32 v55, v129, v58, 1                               // 000000007ED4: D1FF0037 02067581
	v_cndmask_b32_e64 v61, v55, v57, s[48:49]                  // 000000007EDC: D100003D 00C27337
	v_perm_b32 v128, v61, v60, s56                             // 000000007EE4: D1ED0080 00E2793D
	s_mov_b32 s56, 0x7060302                                   // 000000007EEC: BEB800FF 07060302
	v_cmp_u_f32_e64 s[48:49], v130, v130                       // 000000007EF4: D0480030 00030582
	v_add3_u32 v55, v130, v58, 1                               // 000000007EFC: D1FF0037 02067582
	v_cndmask_b32_e64 v60, v55, v57, s[48:49]                  // 000000007F04: D100003C 00C27337
	v_cmp_u_f32_e64 s[48:49], v131, v131                       // 000000007F0C: D0480030 00030783
	v_add3_u32 v55, v131, v58, 1                               // 000000007F14: D1FF0037 02067583
	v_cndmask_b32_e64 v61, v55, v57, s[48:49]                  // 000000007F1C: D100003D 00C27337
	v_perm_b32 v129, v61, v60, s56                             // 000000007F24: D1ED0081 00E2793D
	s_mov_b32 s56, 0x7060302                                   // 000000007F2C: BEB800FF 07060302
	v_cmp_u_f32_e64 s[48:49], v132, v132                       // 000000007F34: D0480030 00030984
	v_add3_u32 v55, v132, v58, 1                               // 000000007F3C: D1FF0037 02067584
	v_cndmask_b32_e64 v60, v55, v57, s[48:49]                  // 000000007F44: D100003C 00C27337
	v_cmp_u_f32_e64 s[48:49], v133, v133                       // 000000007F4C: D0480030 00030B85
	v_add3_u32 v55, v133, v58, 1                               // 000000007F54: D1FF0037 02067585
	v_cndmask_b32_e64 v61, v55, v57, s[48:49]                  // 000000007F5C: D100003D 00C27337
	v_perm_b32 v130, v61, v60, s56                             // 000000007F64: D1ED0082 00E2793D
	s_mov_b32 s56, 0x7060302                                   // 000000007F6C: BEB800FF 07060302
	v_cmp_u_f32_e64 s[48:49], v134, v134                       // 000000007F74: D0480030 00030D86
	v_add3_u32 v55, v134, v58, 1                               // 000000007F7C: D1FF0037 02067586
	v_cndmask_b32_e64 v60, v55, v57, s[48:49]                  // 000000007F84: D100003C 00C27337
	v_cmp_u_f32_e64 s[48:49], v135, v135                       // 000000007F8C: D0480030 00030F87
	v_add3_u32 v55, v135, v58, 1                               // 000000007F94: D1FF0037 02067587
	v_cndmask_b32_e64 v61, v55, v57, s[48:49]                  // 000000007F9C: D100003D 00C27337
	v_perm_b32 v131, v61, v60, s56                             // 000000007FA4: D1ED0083 00E2793D
	s_mov_b32 s56, 0x7060302                                   // 000000007FAC: BEB800FF 07060302
	v_cmp_u_f32_e64 s[48:49], v136, v136                       // 000000007FB4: D0480030 00031188
	v_add3_u32 v55, v136, v58, 1                               // 000000007FBC: D1FF0037 02067588
	v_cndmask_b32_e64 v60, v55, v57, s[48:49]                  // 000000007FC4: D100003C 00C27337
	v_cmp_u_f32_e64 s[48:49], v137, v137                       // 000000007FCC: D0480030 00031389
	v_add3_u32 v55, v137, v58, 1                               // 000000007FD4: D1FF0037 02067589
	v_cndmask_b32_e64 v61, v55, v57, s[48:49]                  // 000000007FDC: D100003D 00C27337
	v_perm_b32 v132, v61, v60, s56                             // 000000007FE4: D1ED0084 00E2793D
	s_mov_b32 s56, 0x7060302                                   // 000000007FEC: BEB800FF 07060302
	v_cmp_u_f32_e64 s[48:49], v138, v138                       // 000000007FF4: D0480030 0003158A
	v_add3_u32 v55, v138, v58, 1                               // 000000007FFC: D1FF0037 0206758A
	v_cndmask_b32_e64 v60, v55, v57, s[48:49]                  // 000000008004: D100003C 00C27337
	v_cmp_u_f32_e64 s[48:49], v139, v139                       // 00000000800C: D0480030 0003178B
	v_add3_u32 v55, v139, v58, 1                               // 000000008014: D1FF0037 0206758B
	v_cndmask_b32_e64 v61, v55, v57, s[48:49]                  // 00000000801C: D100003D 00C27337
	v_perm_b32 v133, v61, v60, s56                             // 000000008024: D1ED0085 00E2793D
	s_mov_b32 s56, 0x7060302                                   // 00000000802C: BEB800FF 07060302
	v_cmp_u_f32_e64 s[48:49], v140, v140                       // 000000008034: D0480030 0003198C
	v_add3_u32 v55, v140, v58, 1                               // 00000000803C: D1FF0037 0206758C
	v_cndmask_b32_e64 v60, v55, v57, s[48:49]                  // 000000008044: D100003C 00C27337
	v_cmp_u_f32_e64 s[48:49], v141, v141                       // 00000000804C: D0480030 00031B8D
	v_add3_u32 v55, v141, v58, 1                               // 000000008054: D1FF0037 0206758D
	v_cndmask_b32_e64 v61, v55, v57, s[48:49]                  // 00000000805C: D100003D 00C27337
	v_perm_b32 v134, v61, v60, s56                             // 000000008064: D1ED0086 00E2793D
	s_mov_b32 s56, 0x7060302                                   // 00000000806C: BEB800FF 07060302
	v_cmp_u_f32_e64 s[48:49], v142, v142                       // 000000008074: D0480030 00031D8E
	v_add3_u32 v55, v142, v58, 1                               // 00000000807C: D1FF0037 0206758E
	v_cndmask_b32_e64 v60, v55, v57, s[48:49]                  // 000000008084: D100003C 00C27337
	v_cmp_u_f32_e64 s[48:49], v143, v143                       // 00000000808C: D0480030 00031F8F
	v_add3_u32 v55, v143, v58, 1                               // 000000008094: D1FF0037 0206758F
	v_cndmask_b32_e64 v61, v55, v57, s[48:49]                  // 00000000809C: D100003D 00C27337
	v_perm_b32 v135, v61, v60, s56                             // 0000000080A4: D1ED0087 00E2793D
	s_mov_b32 s56, 0x7060302                                   // 0000000080AC: BEB800FF 07060302
	v_cmp_u_f32_e64 s[48:49], v144, v144                       // 0000000080B4: D0480030 00032190
	v_add3_u32 v55, v144, v58, 1                               // 0000000080BC: D1FF0037 02067590
	v_cndmask_b32_e64 v60, v55, v57, s[48:49]                  // 0000000080C4: D100003C 00C27337
	v_cmp_u_f32_e64 s[48:49], v145, v145                       // 0000000080CC: D0480030 00032391
	v_add3_u32 v55, v145, v58, 1                               // 0000000080D4: D1FF0037 02067591
	v_cndmask_b32_e64 v61, v55, v57, s[48:49]                  // 0000000080DC: D100003D 00C27337
	v_perm_b32 v136, v61, v60, s56                             // 0000000080E4: D1ED0088 00E2793D
	s_mov_b32 s56, 0x7060302                                   // 0000000080EC: BEB800FF 07060302
	v_cmp_u_f32_e64 s[48:49], v146, v146                       // 0000000080F4: D0480030 00032592
	v_add3_u32 v55, v146, v58, 1                               // 0000000080FC: D1FF0037 02067592
	v_cndmask_b32_e64 v60, v55, v57, s[48:49]                  // 000000008104: D100003C 00C27337
	v_cmp_u_f32_e64 s[48:49], v147, v147                       // 00000000810C: D0480030 00032793
	v_add3_u32 v55, v147, v58, 1                               // 000000008114: D1FF0037 02067593
	v_cndmask_b32_e64 v61, v55, v57, s[48:49]                  // 00000000811C: D100003D 00C27337
	v_perm_b32 v137, v61, v60, s56                             // 000000008124: D1ED0089 00E2793D
	s_mov_b32 s56, 0x7060302                                   // 00000000812C: BEB800FF 07060302
	v_cmp_u_f32_e64 s[48:49], v148, v148                       // 000000008134: D0480030 00032994
	v_add3_u32 v55, v148, v58, 1                               // 00000000813C: D1FF0037 02067594
	v_cndmask_b32_e64 v60, v55, v57, s[48:49]                  // 000000008144: D100003C 00C27337
	v_cmp_u_f32_e64 s[48:49], v149, v149                       // 00000000814C: D0480030 00032B95
	v_add3_u32 v55, v149, v58, 1                               // 000000008154: D1FF0037 02067595
	v_cndmask_b32_e64 v61, v55, v57, s[48:49]                  // 00000000815C: D100003D 00C27337
	v_perm_b32 v138, v61, v60, s56                             // 000000008164: D1ED008A 00E2793D
	s_mov_b32 s56, 0x7060302                                   // 00000000816C: BEB800FF 07060302
	v_cmp_u_f32_e64 s[48:49], v150, v150                       // 000000008174: D0480030 00032D96
	v_add3_u32 v55, v150, v58, 1                               // 00000000817C: D1FF0037 02067596
	v_cndmask_b32_e64 v60, v55, v57, s[48:49]                  // 000000008184: D100003C 00C27337
	v_cmp_u_f32_e64 s[48:49], v151, v151                       // 00000000818C: D0480030 00032F97
	v_add3_u32 v55, v151, v58, 1                               // 000000008194: D1FF0037 02067597
	v_cndmask_b32_e64 v61, v55, v57, s[48:49]                  // 00000000819C: D100003D 00C27337
	v_perm_b32 v139, v61, v60, s56                             // 0000000081A4: D1ED008B 00E2793D
	s_mov_b32 s56, 0x7060302                                   // 0000000081AC: BEB800FF 07060302
	v_cmp_u_f32_e64 s[48:49], v152, v152                       // 0000000081B4: D0480030 00033198
	v_add3_u32 v55, v152, v58, 1                               // 0000000081BC: D1FF0037 02067598
	v_cndmask_b32_e64 v60, v55, v57, s[48:49]                  // 0000000081C4: D100003C 00C27337
	v_cmp_u_f32_e64 s[48:49], v153, v153                       // 0000000081CC: D0480030 00033399
	v_add3_u32 v55, v153, v58, 1                               // 0000000081D4: D1FF0037 02067599
	v_cndmask_b32_e64 v61, v55, v57, s[48:49]                  // 0000000081DC: D100003D 00C27337
	v_perm_b32 v140, v61, v60, s56                             // 0000000081E4: D1ED008C 00E2793D
	s_mov_b32 s56, 0x7060302                                   // 0000000081EC: BEB800FF 07060302
	v_cmp_u_f32_e64 s[48:49], v154, v154                       // 0000000081F4: D0480030 0003359A
	v_add3_u32 v55, v154, v58, 1                               // 0000000081FC: D1FF0037 0206759A
	v_cndmask_b32_e64 v60, v55, v57, s[48:49]                  // 000000008204: D100003C 00C27337
	v_cmp_u_f32_e64 s[48:49], v155, v155                       // 00000000820C: D0480030 0003379B
	v_add3_u32 v55, v155, v58, 1                               // 000000008214: D1FF0037 0206759B
	v_cndmask_b32_e64 v61, v55, v57, s[48:49]                  // 00000000821C: D100003D 00C27337
	v_perm_b32 v141, v61, v60, s56                             // 000000008224: D1ED008D 00E2793D
	s_mov_b32 s56, 0x7060302                                   // 00000000822C: BEB800FF 07060302
	v_cmp_u_f32_e64 s[48:49], v156, v156                       // 000000008234: D0480030 0003399C
	v_add3_u32 v55, v156, v58, 1                               // 00000000823C: D1FF0037 0206759C
	v_cndmask_b32_e64 v60, v55, v57, s[48:49]                  // 000000008244: D100003C 00C27337
	v_cmp_u_f32_e64 s[48:49], v157, v157                       // 00000000824C: D0480030 00033B9D
	v_add3_u32 v55, v157, v58, 1                               // 000000008254: D1FF0037 0206759D
	v_cndmask_b32_e64 v61, v55, v57, s[48:49]                  // 00000000825C: D100003D 00C27337
	v_perm_b32 v142, v61, v60, s56                             // 000000008264: D1ED008E 00E2793D
	s_mov_b32 s56, 0x7060302                                   // 00000000826C: BEB800FF 07060302
	v_cmp_u_f32_e64 s[48:49], v158, v158                       // 000000008274: D0480030 00033D9E
	v_add3_u32 v55, v158, v58, 1                               // 00000000827C: D1FF0037 0206759E
	v_cndmask_b32_e64 v60, v55, v57, s[48:49]                  // 000000008284: D100003C 00C27337
	v_cmp_u_f32_e64 s[48:49], v159, v159                       // 00000000828C: D0480030 00033F9F
	v_add3_u32 v55, v159, v58, 1                               // 000000008294: D1FF0037 0206759F
	v_cndmask_b32_e64 v61, v55, v57, s[48:49]                  // 00000000829C: D100003D 00C27337
	v_perm_b32 v143, v61, v60, s56                             // 0000000082A4: D1ED008F 00E2793D
	s_mov_b32 s56, 0x7060302                                   // 0000000082AC: BEB800FF 07060302
	v_cmp_u_f32_e64 s[48:49], v160, v160                       // 0000000082B4: D0480030 000341A0
	v_add3_u32 v55, v160, v58, 1                               // 0000000082BC: D1FF0037 020675A0
	v_cndmask_b32_e64 v60, v55, v57, s[48:49]                  // 0000000082C4: D100003C 00C27337
	v_cmp_u_f32_e64 s[48:49], v161, v161                       // 0000000082CC: D0480030 000343A1
	v_add3_u32 v55, v161, v58, 1                               // 0000000082D4: D1FF0037 020675A1
	v_cndmask_b32_e64 v61, v55, v57, s[48:49]                  // 0000000082DC: D100003D 00C27337
	v_perm_b32 v144, v61, v60, s56                             // 0000000082E4: D1ED0090 00E2793D
	s_mov_b32 s56, 0x7060302                                   // 0000000082EC: BEB800FF 07060302
	v_cmp_u_f32_e64 s[48:49], v162, v162                       // 0000000082F4: D0480030 000345A2
	v_add3_u32 v55, v162, v58, 1                               // 0000000082FC: D1FF0037 020675A2
	v_cndmask_b32_e64 v60, v55, v57, s[48:49]                  // 000000008304: D100003C 00C27337
	v_cmp_u_f32_e64 s[48:49], v163, v163                       // 00000000830C: D0480030 000347A3
	v_add3_u32 v55, v163, v58, 1                               // 000000008314: D1FF0037 020675A3
	v_cndmask_b32_e64 v61, v55, v57, s[48:49]                  // 00000000831C: D100003D 00C27337
	v_perm_b32 v145, v61, v60, s56                             // 000000008324: D1ED0091 00E2793D
	s_mov_b32 s56, 0x7060302                                   // 00000000832C: BEB800FF 07060302
	v_cmp_u_f32_e64 s[48:49], v164, v164                       // 000000008334: D0480030 000349A4
	v_add3_u32 v55, v164, v58, 1                               // 00000000833C: D1FF0037 020675A4
	v_cndmask_b32_e64 v60, v55, v57, s[48:49]                  // 000000008344: D100003C 00C27337
	v_cmp_u_f32_e64 s[48:49], v165, v165                       // 00000000834C: D0480030 00034BA5
	v_add3_u32 v55, v165, v58, 1                               // 000000008354: D1FF0037 020675A5
	v_cndmask_b32_e64 v61, v55, v57, s[48:49]                  // 00000000835C: D100003D 00C27337
	v_perm_b32 v146, v61, v60, s56                             // 000000008364: D1ED0092 00E2793D
	s_mov_b32 s56, 0x7060302                                   // 00000000836C: BEB800FF 07060302
	v_cmp_u_f32_e64 s[48:49], v166, v166                       // 000000008374: D0480030 00034DA6
	v_add3_u32 v55, v166, v58, 1                               // 00000000837C: D1FF0037 020675A6
	v_cndmask_b32_e64 v60, v55, v57, s[48:49]                  // 000000008384: D100003C 00C27337
	v_cmp_u_f32_e64 s[48:49], v167, v167                       // 00000000838C: D0480030 00034FA7
	v_add3_u32 v55, v167, v58, 1                               // 000000008394: D1FF0037 020675A7
	v_cndmask_b32_e64 v61, v55, v57, s[48:49]                  // 00000000839C: D100003D 00C27337
	v_perm_b32 v147, v61, v60, s56                             // 0000000083A4: D1ED0093 00E2793D
	s_mov_b32 s56, 0x7060302                                   // 0000000083AC: BEB800FF 07060302
	v_cmp_u_f32_e64 s[48:49], v168, v168                       // 0000000083B4: D0480030 000351A8
	v_add3_u32 v55, v168, v58, 1                               // 0000000083BC: D1FF0037 020675A8
	v_cndmask_b32_e64 v60, v55, v57, s[48:49]                  // 0000000083C4: D100003C 00C27337
	v_cmp_u_f32_e64 s[48:49], v169, v169                       // 0000000083CC: D0480030 000353A9
	v_add3_u32 v55, v169, v58, 1                               // 0000000083D4: D1FF0037 020675A9
	v_cndmask_b32_e64 v61, v55, v57, s[48:49]                  // 0000000083DC: D100003D 00C27337
	v_perm_b32 v148, v61, v60, s56                             // 0000000083E4: D1ED0094 00E2793D
	s_mov_b32 s56, 0x7060302                                   // 0000000083EC: BEB800FF 07060302
	v_cmp_u_f32_e64 s[48:49], v170, v170                       // 0000000083F4: D0480030 000355AA
	v_add3_u32 v55, v170, v58, 1                               // 0000000083FC: D1FF0037 020675AA
	v_cndmask_b32_e64 v60, v55, v57, s[48:49]                  // 000000008404: D100003C 00C27337
	v_cmp_u_f32_e64 s[48:49], v171, v171                       // 00000000840C: D0480030 000357AB
	v_add3_u32 v55, v171, v58, 1                               // 000000008414: D1FF0037 020675AB
	v_cndmask_b32_e64 v61, v55, v57, s[48:49]                  // 00000000841C: D100003D 00C27337
	v_perm_b32 v149, v61, v60, s56                             // 000000008424: D1ED0095 00E2793D
	s_mov_b32 s56, 0x7060302                                   // 00000000842C: BEB800FF 07060302
	v_cmp_u_f32_e64 s[48:49], v172, v172                       // 000000008434: D0480030 000359AC
	v_add3_u32 v55, v172, v58, 1                               // 00000000843C: D1FF0037 020675AC
	v_cndmask_b32_e64 v60, v55, v57, s[48:49]                  // 000000008444: D100003C 00C27337
	v_cmp_u_f32_e64 s[48:49], v173, v173                       // 00000000844C: D0480030 00035BAD
	v_add3_u32 v55, v173, v58, 1                               // 000000008454: D1FF0037 020675AD
	v_cndmask_b32_e64 v61, v55, v57, s[48:49]                  // 00000000845C: D100003D 00C27337
	v_perm_b32 v150, v61, v60, s56                             // 000000008464: D1ED0096 00E2793D
	s_mov_b32 s56, 0x7060302                                   // 00000000846C: BEB800FF 07060302
	v_cmp_u_f32_e64 s[48:49], v174, v174                       // 000000008474: D0480030 00035DAE
	v_add3_u32 v55, v174, v58, 1                               // 00000000847C: D1FF0037 020675AE
	v_cndmask_b32_e64 v60, v55, v57, s[48:49]                  // 000000008484: D100003C 00C27337
	v_cmp_u_f32_e64 s[48:49], v175, v175                       // 00000000848C: D0480030 00035FAF
	v_add3_u32 v55, v175, v58, 1                               // 000000008494: D1FF0037 020675AF
	v_cndmask_b32_e64 v61, v55, v57, s[48:49]                  // 00000000849C: D100003D 00C27337
	v_perm_b32 v151, v61, v60, s56                             // 0000000084A4: D1ED0097 00E2793D
	s_mov_b32 s56, 0x7060302                                   // 0000000084AC: BEB800FF 07060302
	v_cmp_u_f32_e64 s[48:49], v176, v176                       // 0000000084B4: D0480030 000361B0
	v_add3_u32 v55, v176, v58, 1                               // 0000000084BC: D1FF0037 020675B0
	v_cndmask_b32_e64 v60, v55, v57, s[48:49]                  // 0000000084C4: D100003C 00C27337
	v_cmp_u_f32_e64 s[48:49], v177, v177                       // 0000000084CC: D0480030 000363B1
	v_add3_u32 v55, v177, v58, 1                               // 0000000084D4: D1FF0037 020675B1
	v_cndmask_b32_e64 v61, v55, v57, s[48:49]                  // 0000000084DC: D100003D 00C27337
	v_perm_b32 v152, v61, v60, s56                             // 0000000084E4: D1ED0098 00E2793D
	s_mov_b32 s56, 0x7060302                                   // 0000000084EC: BEB800FF 07060302
	v_cmp_u_f32_e64 s[48:49], v178, v178                       // 0000000084F4: D0480030 000365B2
	v_add3_u32 v55, v178, v58, 1                               // 0000000084FC: D1FF0037 020675B2
	v_cndmask_b32_e64 v60, v55, v57, s[48:49]                  // 000000008504: D100003C 00C27337
	v_cmp_u_f32_e64 s[48:49], v179, v179                       // 00000000850C: D0480030 000367B3
	v_add3_u32 v55, v179, v58, 1                               // 000000008514: D1FF0037 020675B3
	v_cndmask_b32_e64 v61, v55, v57, s[48:49]                  // 00000000851C: D100003D 00C27337
	v_perm_b32 v153, v61, v60, s56                             // 000000008524: D1ED0099 00E2793D
	s_mov_b32 s56, 0x7060302                                   // 00000000852C: BEB800FF 07060302
	v_cmp_u_f32_e64 s[48:49], v180, v180                       // 000000008534: D0480030 000369B4
	v_add3_u32 v55, v180, v58, 1                               // 00000000853C: D1FF0037 020675B4
	v_cndmask_b32_e64 v60, v55, v57, s[48:49]                  // 000000008544: D100003C 00C27337
	v_cmp_u_f32_e64 s[48:49], v181, v181                       // 00000000854C: D0480030 00036BB5
	v_add3_u32 v55, v181, v58, 1                               // 000000008554: D1FF0037 020675B5
	v_cndmask_b32_e64 v61, v55, v57, s[48:49]                  // 00000000855C: D100003D 00C27337
	v_perm_b32 v154, v61, v60, s56                             // 000000008564: D1ED009A 00E2793D
	s_mov_b32 s56, 0x7060302                                   // 00000000856C: BEB800FF 07060302
	v_cmp_u_f32_e64 s[48:49], v182, v182                       // 000000008574: D0480030 00036DB6
	v_add3_u32 v55, v182, v58, 1                               // 00000000857C: D1FF0037 020675B6
	v_cndmask_b32_e64 v60, v55, v57, s[48:49]                  // 000000008584: D100003C 00C27337
	v_cmp_u_f32_e64 s[48:49], v183, v183                       // 00000000858C: D0480030 00036FB7
	v_add3_u32 v55, v183, v58, 1                               // 000000008594: D1FF0037 020675B7
	v_cndmask_b32_e64 v61, v55, v57, s[48:49]                  // 00000000859C: D100003D 00C27337
	v_perm_b32 v155, v61, v60, s56                             // 0000000085A4: D1ED009B 00E2793D
	s_mov_b32 s56, 0x7060302                                   // 0000000085AC: BEB800FF 07060302
	v_cmp_u_f32_e64 s[48:49], v184, v184                       // 0000000085B4: D0480030 000371B8
	v_add3_u32 v55, v184, v58, 1                               // 0000000085BC: D1FF0037 020675B8
	v_cndmask_b32_e64 v60, v55, v57, s[48:49]                  // 0000000085C4: D100003C 00C27337
	v_cmp_u_f32_e64 s[48:49], v185, v185                       // 0000000085CC: D0480030 000373B9
	v_add3_u32 v55, v185, v58, 1                               // 0000000085D4: D1FF0037 020675B9
	v_cndmask_b32_e64 v61, v55, v57, s[48:49]                  // 0000000085DC: D100003D 00C27337
	v_perm_b32 v156, v61, v60, s56                             // 0000000085E4: D1ED009C 00E2793D
	s_mov_b32 s56, 0x7060302                                   // 0000000085EC: BEB800FF 07060302
	v_cmp_u_f32_e64 s[48:49], v186, v186                       // 0000000085F4: D0480030 000375BA
	v_add3_u32 v55, v186, v58, 1                               // 0000000085FC: D1FF0037 020675BA
	v_cndmask_b32_e64 v60, v55, v57, s[48:49]                  // 000000008604: D100003C 00C27337
	v_cmp_u_f32_e64 s[48:49], v187, v187                       // 00000000860C: D0480030 000377BB
	v_add3_u32 v55, v187, v58, 1                               // 000000008614: D1FF0037 020675BB
	v_cndmask_b32_e64 v61, v55, v57, s[48:49]                  // 00000000861C: D100003D 00C27337
	v_perm_b32 v157, v61, v60, s56                             // 000000008624: D1ED009D 00E2793D
	s_mov_b32 s56, 0x7060302                                   // 00000000862C: BEB800FF 07060302
	v_cmp_u_f32_e64 s[48:49], v188, v188                       // 000000008634: D0480030 000379BC
	v_add3_u32 v55, v188, v58, 1                               // 00000000863C: D1FF0037 020675BC
	v_cndmask_b32_e64 v60, v55, v57, s[48:49]                  // 000000008644: D100003C 00C27337
	v_cmp_u_f32_e64 s[48:49], v189, v189                       // 00000000864C: D0480030 00037BBD
	v_add3_u32 v55, v189, v58, 1                               // 000000008654: D1FF0037 020675BD
	v_cndmask_b32_e64 v61, v55, v57, s[48:49]                  // 00000000865C: D100003D 00C27337
	v_perm_b32 v158, v61, v60, s56                             // 000000008664: D1ED009E 00E2793D
	s_mov_b32 s56, 0x7060302                                   // 00000000866C: BEB800FF 07060302
	v_cmp_u_f32_e64 s[48:49], v190, v190                       // 000000008674: D0480030 00037DBE
	v_add3_u32 v55, v190, v58, 1                               // 00000000867C: D1FF0037 020675BE
	v_cndmask_b32_e64 v60, v55, v57, s[48:49]                  // 000000008684: D100003C 00C27337
	v_cmp_u_f32_e64 s[48:49], v191, v191                       // 00000000868C: D0480030 00037FBF
	v_add3_u32 v55, v191, v58, 1                               // 000000008694: D1FF0037 020675BF
	v_cndmask_b32_e64 v61, v55, v57, s[48:49]                  // 00000000869C: D100003D 00C27337
	v_perm_b32 v159, v61, v60, s56                             // 0000000086A4: D1ED009F 00E2793D
	ds_write_b64 v4, v[128:129]                                // 0000000086AC: D89A0000 00008004
	ds_write_b64 v4, v[130:131] offset:8704                    // 0000000086B4: D89A2200 00008204
	ds_write_b64 v5, v[132:133]                                // 0000000086BC: D89A0000 00008405
	ds_write_b64 v5, v[134:135] offset:8704                    // 0000000086C4: D89A2200 00008605
	ds_write_b64 v4, v[136:137] offset:2176                    // 0000000086CC: D89A0880 00008804
	ds_write_b64 v4, v[138:139] offset:10880                   // 0000000086D4: D89A2A80 00008A04
	ds_write_b64 v5, v[140:141] offset:2176                    // 0000000086DC: D89A0880 00008C05
	ds_write_b64 v5, v[142:143] offset:10880                   // 0000000086E4: D89A2A80 00008E05
	ds_write_b64 v4, v[144:145] offset:4352                    // 0000000086EC: D89A1100 00009004
	ds_write_b64 v4, v[146:147] offset:13056                   // 0000000086F4: D89A3300 00009204
	ds_write_b64 v5, v[148:149] offset:4352                    // 0000000086FC: D89A1100 00009405
	ds_write_b64 v5, v[150:151] offset:13056                   // 000000008704: D89A3300 00009605
	ds_write_b64 v4, v[152:153] offset:6528                    // 00000000870C: D89A1980 00009804
	ds_write_b64 v4, v[154:155] offset:15232                   // 000000008714: D89A3B80 00009A04
	ds_write_b64 v5, v[156:157] offset:6528                    // 00000000871C: D89A1980 00009C05
	ds_write_b64 v5, v[158:159] offset:15232                   // 000000008724: D89A3B80 00009E05
	s_waitcnt lgkmcnt(0)                                       // 00000000872C: BF8CC07F
	s_barrier                                                  // 000000008730: BF8A0000
	ds_read_b32 v64, v6                                        // 000000008734: D86C0000 40000006
	ds_read_b32 v65, v6 offset:4352                            // 00000000873C: D86C1100 41000006
	ds_read_b32 v66, v6 offset:32                              // 000000008744: D86C0020 42000006
	ds_read_b32 v67, v6 offset:4384                            // 00000000874C: D86C1120 43000006
	ds_read_b32 v68, v6 offset:64                              // 000000008754: D86C0040 44000006
	ds_read_b32 v69, v6 offset:4416                            // 00000000875C: D86C1140 45000006
	ds_read_b32 v70, v6 offset:96                              // 000000008764: D86C0060 46000006
	ds_read_b32 v71, v6 offset:4448                            // 00000000876C: D86C1160 47000006
	ds_read_b32 v72, v6 offset:8704                            // 000000008774: D86C2200 48000006
	ds_read_b32 v73, v6 offset:13056                           // 00000000877C: D86C3300 49000006
	ds_read_b32 v74, v6 offset:8736                            // 000000008784: D86C2220 4A000006
	ds_read_b32 v75, v6 offset:13088                           // 00000000878C: D86C3320 4B000006
	ds_read_b32 v76, v6 offset:8768                            // 000000008794: D86C2240 4C000006
	ds_read_b32 v77, v6 offset:13120                           // 00000000879C: D86C3340 4D000006
	ds_read_b32 v78, v6 offset:8800                            // 0000000087A4: D86C2260 4E000006
	ds_read_b32 v79, v6 offset:13152                           // 0000000087AC: D86C3360 4F000006
	ds_read_b32 v80, v7                                        // 0000000087B4: D86C0000 50000007
	ds_read_b32 v81, v7 offset:4352                            // 0000000087BC: D86C1100 51000007
	ds_read_b32 v82, v7 offset:32                              // 0000000087C4: D86C0020 52000007
	ds_read_b32 v83, v7 offset:4384                            // 0000000087CC: D86C1120 53000007
	ds_read_b32 v84, v7 offset:64                              // 0000000087D4: D86C0040 54000007
	ds_read_b32 v85, v7 offset:4416                            // 0000000087DC: D86C1140 55000007
	ds_read_b32 v86, v7 offset:96                              // 0000000087E4: D86C0060 56000007
	ds_read_b32 v87, v7 offset:4448                            // 0000000087EC: D86C1160 57000007
	ds_read_b32 v88, v7 offset:8704                            // 0000000087F4: D86C2200 58000007
	ds_read_b32 v89, v7 offset:13056                           // 0000000087FC: D86C3300 59000007
	ds_read_b32 v90, v7 offset:8736                            // 000000008804: D86C2220 5A000007
	ds_read_b32 v91, v7 offset:13088                           // 00000000880C: D86C3320 5B000007
	ds_read_b32 v92, v7 offset:8768                            // 000000008814: D86C2240 5C000007
	ds_read_b32 v93, v7 offset:13120                           // 00000000881C: D86C3340 5D000007
	ds_read_b32 v94, v7 offset:8800                            // 000000008824: D86C2260 5E000007
	ds_read_b32 v95, v7 offset:13152                           // 00000000882C: D86C3360 5F000007
	s_waitcnt lgkmcnt(0)                                       // 000000008834: BF8CC07F
	s_setvskip s20, 0                                          // 000000008838: BF108014
	global_atomic_pk_add_bf16 v96, v64, s[8:9]                 // 00000000883C: DD488000 00084060
	s_setvskip 0, 0                                            // 000000008844: BF108080
	s_setvskip s20, 0                                          // 000000008848: BF108014
	global_atomic_pk_add_bf16 v96, v65, s[8:9] offset:256      // 00000000884C: DD488100 00084160
	s_setvskip 0, 0                                            // 000000008854: BF108080
	s_setvskip s20, 1                                          // 000000008858: BF108114
	global_atomic_pk_add_bf16 v98, v66, s[8:9]                 // 00000000885C: DD488000 00084262
	s_setvskip 0, 0                                            // 000000008864: BF108080
	s_setvskip s20, 1                                          // 000000008868: BF108114
	global_atomic_pk_add_bf16 v98, v67, s[8:9] offset:256      // 00000000886C: DD488100 00084362
	s_setvskip 0, 0                                            // 000000008874: BF108080
	s_setvskip s20, 2                                          // 000000008878: BF108214
	global_atomic_pk_add_bf16 v100, v68, s[8:9]                // 00000000887C: DD488000 00084464
	s_setvskip 0, 0                                            // 000000008884: BF108080
	s_setvskip s20, 2                                          // 000000008888: BF108214
	global_atomic_pk_add_bf16 v100, v69, s[8:9] offset:256     // 00000000888C: DD488100 00084564
	s_setvskip 0, 0                                            // 000000008894: BF108080
	s_setvskip s20, 3                                          // 000000008898: BF108314
	global_atomic_pk_add_bf16 v102, v70, s[8:9]                // 00000000889C: DD488000 00084666
	s_setvskip 0, 0                                            // 0000000088A4: BF108080
	s_setvskip s20, 3                                          // 0000000088A8: BF108314
	global_atomic_pk_add_bf16 v102, v71, s[8:9] offset:256     // 0000000088AC: DD488100 00084766
	s_setvskip 0, 0                                            // 0000000088B4: BF108080
	s_setvskip s20, 4                                          // 0000000088B8: BF108414
	global_atomic_pk_add_bf16 v104, v72, s[8:9]                // 0000000088BC: DD488000 00084868
	s_setvskip 0, 0                                            // 0000000088C4: BF108080
	s_setvskip s20, 4                                          // 0000000088C8: BF108414
	global_atomic_pk_add_bf16 v104, v73, s[8:9] offset:256     // 0000000088CC: DD488100 00084968
	s_setvskip 0, 0                                            // 0000000088D4: BF108080
	s_setvskip s20, 5                                          // 0000000088D8: BF108514
	global_atomic_pk_add_bf16 v106, v74, s[8:9]                // 0000000088DC: DD488000 00084A6A
	s_setvskip 0, 0                                            // 0000000088E4: BF108080
	s_setvskip s20, 5                                          // 0000000088E8: BF108514
	global_atomic_pk_add_bf16 v106, v75, s[8:9] offset:256     // 0000000088EC: DD488100 00084B6A
	s_setvskip 0, 0                                            // 0000000088F4: BF108080
	s_setvskip s20, 6                                          // 0000000088F8: BF108614
	global_atomic_pk_add_bf16 v108, v76, s[8:9]                // 0000000088FC: DD488000 00084C6C
	s_setvskip 0, 0                                            // 000000008904: BF108080
	s_setvskip s20, 6                                          // 000000008908: BF108614
	global_atomic_pk_add_bf16 v108, v77, s[8:9] offset:256     // 00000000890C: DD488100 00084D6C
	s_setvskip 0, 0                                            // 000000008914: BF108080
	s_setvskip s20, 7                                          // 000000008918: BF108714
	global_atomic_pk_add_bf16 v110, v78, s[8:9]                // 00000000891C: DD488000 00084E6E
	s_setvskip 0, 0                                            // 000000008924: BF108080
	s_setvskip s20, 7                                          // 000000008928: BF108714
	global_atomic_pk_add_bf16 v110, v79, s[8:9] offset:256     // 00000000892C: DD488100 00084F6E
	s_setvskip 0, 0                                            // 000000008934: BF108080
	s_setvskip s20, 8                                          // 000000008938: BF108814
	global_atomic_pk_add_bf16 v112, v80, s[8:9]                // 00000000893C: DD488000 00085070
	s_setvskip 0, 0                                            // 000000008944: BF108080
	s_setvskip s20, 8                                          // 000000008948: BF108814
	global_atomic_pk_add_bf16 v112, v81, s[8:9] offset:256     // 00000000894C: DD488100 00085170
	s_setvskip 0, 0                                            // 000000008954: BF108080
	s_setvskip s20, 9                                          // 000000008958: BF108914
	global_atomic_pk_add_bf16 v114, v82, s[8:9]                // 00000000895C: DD488000 00085272
	s_setvskip 0, 0                                            // 000000008964: BF108080
	s_setvskip s20, 9                                          // 000000008968: BF108914
	global_atomic_pk_add_bf16 v114, v83, s[8:9] offset:256     // 00000000896C: DD488100 00085372
	s_setvskip 0, 0                                            // 000000008974: BF108080
	s_setvskip s20, 10                                         // 000000008978: BF108A14
	global_atomic_pk_add_bf16 v116, v84, s[8:9]                // 00000000897C: DD488000 00085474
	s_setvskip 0, 0                                            // 000000008984: BF108080
	s_setvskip s20, 10                                         // 000000008988: BF108A14
	global_atomic_pk_add_bf16 v116, v85, s[8:9] offset:256     // 00000000898C: DD488100 00085574
	s_setvskip 0, 0                                            // 000000008994: BF108080
	s_setvskip s20, 11                                         // 000000008998: BF108B14
	global_atomic_pk_add_bf16 v118, v86, s[8:9]                // 00000000899C: DD488000 00085676
	s_setvskip 0, 0                                            // 0000000089A4: BF108080
	s_setvskip s20, 11                                         // 0000000089A8: BF108B14
	global_atomic_pk_add_bf16 v118, v87, s[8:9] offset:256     // 0000000089AC: DD488100 00085776
	s_setvskip 0, 0                                            // 0000000089B4: BF108080
	s_setvskip s20, 12                                         // 0000000089B8: BF108C14
	global_atomic_pk_add_bf16 v120, v88, s[8:9]                // 0000000089BC: DD488000 00085878
	s_setvskip 0, 0                                            // 0000000089C4: BF108080
	s_setvskip s20, 12                                         // 0000000089C8: BF108C14
	global_atomic_pk_add_bf16 v120, v89, s[8:9] offset:256     // 0000000089CC: DD488100 00085978
	s_setvskip 0, 0                                            // 0000000089D4: BF108080
	s_setvskip s20, 13                                         // 0000000089D8: BF108D14
	global_atomic_pk_add_bf16 v122, v90, s[8:9]                // 0000000089DC: DD488000 00085A7A
	s_setvskip 0, 0                                            // 0000000089E4: BF108080
	s_setvskip s20, 13                                         // 0000000089E8: BF108D14
	global_atomic_pk_add_bf16 v122, v91, s[8:9] offset:256     // 0000000089EC: DD488100 00085B7A
	s_setvskip 0, 0                                            // 0000000089F4: BF108080
	s_setvskip s20, 14                                         // 0000000089F8: BF108E14
	global_atomic_pk_add_bf16 v124, v92, s[8:9]                // 0000000089FC: DD488000 00085C7C
	s_setvskip 0, 0                                            // 000000008A04: BF108080
	s_setvskip s20, 14                                         // 000000008A08: BF108E14
	global_atomic_pk_add_bf16 v124, v93, s[8:9] offset:256     // 000000008A0C: DD488100 00085D7C
	s_setvskip 0, 0                                            // 000000008A14: BF108080
	s_setvskip s20, 15                                         // 000000008A18: BF108F14
	global_atomic_pk_add_bf16 v126, v94, s[8:9]                // 000000008A1C: DD488000 00085E7E
	s_setvskip 0, 0                                            // 000000008A24: BF108080
	s_setvskip s20, 15                                         // 000000008A28: BF108F14
	global_atomic_pk_add_bf16 v126, v95, s[8:9] offset:256     // 000000008A2C: DD488100 00085F7E
	s_setvskip 0, 0                                            // 000000008A34: BF108080
	s_add_u32 s8, s55, s8                                      // 000000008A38: 80080837
	s_addc_u32 s9, 0, s9                                       // 000000008A3C: 82090980
	s_addk_i32 s76, 0x100                                      // 000000008A40: B74C0100
	s_cmp_lt_i32 s76, s77                                      // 000000008A44: BF044D4C
	s_cbranch_scc0 label_1C2F                                  // 000000008A48: BF84051C
	s_waitcnt vmcnt(12)                                        // 000000008A4C: BF8C0F7C
	s_barrier                                                  // 000000008A50: BF8A0000
	v_mfma_f32_16x16x32_fp8_fp8 v[192:195], a[64:65], a[128:129], 0// 000000008A54: D3F300C0 1A030140
	v_mfma_f32_16x16x32_fp8_fp8 v[192:195], a[66:67], a[130:131], v[192:195]// 000000008A5C: D3F300C0 1F030542
	buffer_load_dwordx4 a[0:3], v51, s[12:15], 0 offen         // 000000008A64: E05C1000 80830033
	v_mfma_f32_16x16x32_fp8_fp8 v[196:199], a[64:65], a[144:145], 0// 000000008A6C: D3F300C4 1A032140
	v_mfma_f32_16x16x32_fp8_fp8 v[196:199], a[66:67], a[146:147], v[196:199]// 000000008A74: D3F300C4 1F132542
	buffer_load_dword v37, v8, s[16:19], 0 offen               // 000000008A7C: E0501000 80042508
	v_mfma_f32_16x16x32_fp8_fp8 v[200:203], a[64:65], a[160:161], 0// 000000008A84: D3F300C8 1A034140
	v_mfma_f32_16x16x32_fp8_fp8 v[200:203], a[66:67], a[162:163], v[200:203]// 000000008A8C: D3F300C8 1F234542
	buffer_load_dwordx4 a[4:7], v52, s[12:15], 0 offen         // 000000008A94: E05C1000 80830434
	v_mfma_f32_16x16x32_fp8_fp8 v[204:207], a[64:65], a[176:177], 0// 000000008A9C: D3F300CC 1A036140
	v_mfma_f32_16x16x32_fp8_fp8 v[204:207], a[66:67], a[178:179], v[204:207]// 000000008AA4: D3F300CC 1F336542
	v_mfma_f32_16x16x32_fp8_fp8 v[208:211], a[68:69], a[128:129], 0// 000000008AAC: D3F300D0 1A030144
	v_mfma_f32_16x16x32_fp8_fp8 v[208:211], a[70:71], a[130:131], v[208:211]// 000000008AB4: D3F300D0 1F430546
	buffer_load_dwordx4 a[8:11], v53, s[12:15], 0 offen        // 000000008ABC: E05C1000 80830835
	v_mfma_f32_16x16x32_fp8_fp8 v[212:215], a[68:69], a[144:145], 0// 000000008AC4: D3F300D4 1A032144
	v_mfma_f32_16x16x32_fp8_fp8 v[212:215], a[70:71], a[146:147], v[212:215]// 000000008ACC: D3F300D4 1F532546
	v_mfma_f32_16x16x32_fp8_fp8 v[216:219], a[68:69], a[160:161], 0// 000000008AD4: D3F300D8 1A034144
	v_mfma_f32_16x16x32_fp8_fp8 v[216:219], a[70:71], a[162:163], v[216:219]// 000000008ADC: D3F300D8 1F634546
	buffer_load_dwordx4 a[12:15], v54, s[12:15], 0 offen       // 000000008AE4: E05C1000 80830C36
	s_add_u32 s12, s74, s12                                    // 000000008AEC: 800C0C4A
	s_addc_u32 s13, 0, s13                                     // 000000008AF0: 820D0D80
	v_mfma_f32_16x16x32_fp8_fp8 v[220:223], a[68:69], a[176:177], 0// 000000008AF4: D3F300DC 1A036144
	v_mfma_f32_16x16x32_fp8_fp8 v[220:223], a[70:71], a[178:179], v[220:223]// 000000008AFC: D3F300DC 1F736546
	s_waitcnt vmcnt(13)                                        // 000000008B04: BF8C0F7D
	v_mfma_f32_16x16x32_fp8_fp8 v[224:227], a[72:73], a[128:129], 0// 000000008B08: D3F300E0 1A030148
	v_mfma_f32_16x16x32_fp8_fp8 v[224:227], a[74:75], a[130:131], v[224:227]// 000000008B10: D3F300E0 1F83054A
	buffer_load_dwordx4 a[16:19], v51, s[12:15], 0 offen       // 000000008B18: E05C1000 80831033
	v_mfma_f32_16x16x32_fp8_fp8 v[228:231], a[72:73], a[144:145], 0// 000000008B20: D3F300E4 1A032148
	v_mfma_f32_16x16x32_fp8_fp8 v[228:231], a[74:75], a[146:147], v[228:231]// 000000008B28: D3F300E4 1F93254A
	v_mfma_f32_16x16x32_fp8_fp8 v[232:235], a[72:73], a[160:161], 0// 000000008B30: D3F300E8 1A034148
	v_mfma_f32_16x16x32_fp8_fp8 v[232:235], a[74:75], a[162:163], v[232:235]// 000000008B38: D3F300E8 1FA3454A
	buffer_load_dwordx4 a[20:23], v52, s[12:15], 0 offen       // 000000008B40: E05C1000 80831434
	v_mfma_f32_16x16x32_fp8_fp8 v[236:239], a[72:73], a[176:177], 0// 000000008B48: D3F300EC 1A036148
	v_mfma_f32_16x16x32_fp8_fp8 v[236:239], a[74:75], a[178:179], v[236:239]// 000000008B50: D3F300EC 1FB3654A
	v_mfma_f32_16x16x32_fp8_fp8 v[240:243], a[76:77], a[128:129], 0// 000000008B58: D3F300F0 1A03014C
	v_mfma_f32_16x16x32_fp8_fp8 v[240:243], a[78:79], a[130:131], v[240:243]// 000000008B60: D3F300F0 1FC3054E
	buffer_load_dwordx4 a[24:27], v53, s[12:15], 0 offen       // 000000008B68: E05C1000 80831835
	v_mfma_f32_16x16x32_fp8_fp8 v[244:247], a[76:77], a[144:145], 0// 000000008B70: D3F300F4 1A03214C
	v_mfma_f32_16x16x32_fp8_fp8 v[244:247], a[78:79], a[146:147], v[244:247]// 000000008B78: D3F300F4 1FD3254E
	v_mfma_f32_16x16x32_fp8_fp8 v[248:251], a[76:77], a[160:161], 0// 000000008B80: D3F300F8 1A03414C
	v_mfma_f32_16x16x32_fp8_fp8 v[248:251], a[78:79], a[162:163], v[248:251]// 000000008B88: D3F300F8 1FE3454E
	buffer_load_dwordx4 a[28:31], v54, s[12:15], 0 offen       // 000000008B90: E05C1000 80831C36
	s_add_u32 s12, s74, s12                                    // 000000008B98: 800C0C4A
	s_addc_u32 s13, 0, s13                                     // 000000008B9C: 820D0D80
	v_mfma_f32_16x16x32_fp8_fp8 v[252:255], a[76:77], a[176:177], 0// 000000008BA0: D3F300FC 1A03614C
	v_mfma_f32_16x16x32_fp8_fp8 v[252:255], a[78:79], a[178:179], v[252:255]// 000000008BA8: D3F300FC 1FF3654E
	s_waitcnt vmcnt(13)                                        // 000000008BB0: BF8C0F7D
	v_mfma_f32_16x16x32_fp8_fp8 v[192:195], a[80:81], a[132:133], v[192:195]// 000000008BB4: D3F300C0 1F030950
	v_mfma_f32_16x16x32_fp8_fp8 v[192:195], a[82:83], a[134:135], v[192:195]// 000000008BBC: D3F300C0 1F030D52
	buffer_load_dwordx4 a[32:35], v51, s[12:15], 0 offen       // 000000008BC4: E05C1000 80832033
	v_mfma_f32_16x16x32_fp8_fp8 v[196:199], a[80:81], a[148:149], v[196:199]// 000000008BCC: D3F300C4 1F132950
	v_mfma_f32_16x16x32_fp8_fp8 v[196:199], a[82:83], a[150:151], v[196:199]// 000000008BD4: D3F300C4 1F132D52
	v_mfma_f32_16x16x32_fp8_fp8 v[200:203], a[80:81], a[164:165], v[200:203]// 000000008BDC: D3F300C8 1F234950
	v_mfma_f32_16x16x32_fp8_fp8 v[200:203], a[82:83], a[166:167], v[200:203]// 000000008BE4: D3F300C8 1F234D52
	buffer_load_dwordx4 a[36:39], v52, s[12:15], 0 offen       // 000000008BEC: E05C1000 80832434
	v_mfma_f32_16x16x32_fp8_fp8 v[204:207], a[80:81], a[180:181], v[204:207]// 000000008BF4: D3F300CC 1F336950
	v_mfma_f32_16x16x32_fp8_fp8 v[204:207], a[82:83], a[182:183], v[204:207]// 000000008BFC: D3F300CC 1F336D52
	v_mfma_f32_16x16x32_fp8_fp8 v[208:211], a[84:85], a[132:133], v[208:211]// 000000008C04: D3F300D0 1F430954
	v_mfma_f32_16x16x32_fp8_fp8 v[208:211], a[86:87], a[134:135], v[208:211]// 000000008C0C: D3F300D0 1F430D56
	buffer_load_dwordx4 a[40:43], v53, s[12:15], 0 offen       // 000000008C14: E05C1000 80832835
	v_mfma_f32_16x16x32_fp8_fp8 v[212:215], a[84:85], a[148:149], v[212:215]// 000000008C1C: D3F300D4 1F532954
	v_mfma_f32_16x16x32_fp8_fp8 v[212:215], a[86:87], a[150:151], v[212:215]// 000000008C24: D3F300D4 1F532D56
	v_mfma_f32_16x16x32_fp8_fp8 v[216:219], a[84:85], a[164:165], v[216:219]// 000000008C2C: D3F300D8 1F634954
	v_mfma_f32_16x16x32_fp8_fp8 v[216:219], a[86:87], a[166:167], v[216:219]// 000000008C34: D3F300D8 1F634D56
	buffer_load_dwordx4 a[44:47], v54, s[12:15], 0 offen       // 000000008C3C: E05C1000 80832C36
	s_add_u32 s12, s74, s12                                    // 000000008C44: 800C0C4A
	s_addc_u32 s13, 0, s13                                     // 000000008C48: 820D0D80
	v_mfma_f32_16x16x32_fp8_fp8 v[220:223], a[84:85], a[180:181], v[220:223]// 000000008C4C: D3F300DC 1F736954
	v_mfma_f32_16x16x32_fp8_fp8 v[220:223], a[86:87], a[182:183], v[220:223]// 000000008C54: D3F300DC 1F736D56
	s_waitcnt vmcnt(13)                                        // 000000008C5C: BF8C0F7D
	v_mfma_f32_16x16x32_fp8_fp8 v[224:227], a[88:89], a[132:133], v[224:227]// 000000008C60: D3F300E0 1F830958
	v_mfma_f32_16x16x32_fp8_fp8 v[224:227], a[90:91], a[134:135], v[224:227]// 000000008C68: D3F300E0 1F830D5A
	buffer_load_dwordx4 a[48:51], v51, s[12:15], 0 offen       // 000000008C70: E05C1000 80833033
	v_mfma_f32_16x16x32_fp8_fp8 v[228:231], a[88:89], a[148:149], v[228:231]// 000000008C78: D3F300E4 1F932958
	v_mfma_f32_16x16x32_fp8_fp8 v[228:231], a[90:91], a[150:151], v[228:231]// 000000008C80: D3F300E4 1F932D5A
	v_mfma_f32_16x16x32_fp8_fp8 v[232:235], a[88:89], a[164:165], v[232:235]// 000000008C88: D3F300E8 1FA34958
	v_mfma_f32_16x16x32_fp8_fp8 v[232:235], a[90:91], a[166:167], v[232:235]// 000000008C90: D3F300E8 1FA34D5A
	buffer_load_dwordx4 a[52:55], v52, s[12:15], 0 offen       // 000000008C98: E05C1000 80833434
	v_mfma_f32_16x16x32_fp8_fp8 v[236:239], a[88:89], a[180:181], v[236:239]// 000000008CA0: D3F300EC 1FB36958
	v_mfma_f32_16x16x32_fp8_fp8 v[236:239], a[90:91], a[182:183], v[236:239]// 000000008CA8: D3F300EC 1FB36D5A
	v_mfma_f32_16x16x32_fp8_fp8 v[240:243], a[92:93], a[132:133], v[240:243]// 000000008CB0: D3F300F0 1FC3095C
	v_mfma_f32_16x16x32_fp8_fp8 v[240:243], a[94:95], a[134:135], v[240:243]// 000000008CB8: D3F300F0 1FC30D5E
	buffer_load_dwordx4 a[56:59], v53, s[12:15], 0 offen       // 000000008CC0: E05C1000 80833835
	v_mfma_f32_16x16x32_fp8_fp8 v[244:247], a[92:93], a[148:149], v[244:247]// 000000008CC8: D3F300F4 1FD3295C
	v_mfma_f32_16x16x32_fp8_fp8 v[244:247], a[94:95], a[150:151], v[244:247]// 000000008CD0: D3F300F4 1FD32D5E
	v_mfma_f32_16x16x32_fp8_fp8 v[248:251], a[92:93], a[164:165], v[248:251]// 000000008CD8: D3F300F8 1FE3495C
	v_mfma_f32_16x16x32_fp8_fp8 v[248:251], a[94:95], a[166:167], v[248:251]// 000000008CE0: D3F300F8 1FE34D5E
	buffer_load_dwordx4 a[60:63], v54, s[12:15], 0 offen       // 000000008CE8: E05C1000 80833C36
	v_mfma_f32_16x16x32_fp8_fp8 v[252:255], a[92:93], a[180:181], v[252:255]// 000000008CF0: D3F300FC 1FF3695C
	v_mfma_f32_16x16x32_fp8_fp8 v[252:255], a[94:95], a[182:183], v[252:255]// 000000008CF8: D3F300FC 1FF36D5E
	v_mul_f32_dpp v60, v38, v21 row_newbcast:0 row_mask:0xf bank_mask:0xf// 000000008D00: 0A782AFA FF015026
	v_mov_b32_e32 v61, v60                                     // 000000008D08: 7E7A033C
	v_pk_mul_f32 v[192:193], v[60:61], v[192:193]              // 000000008D0C: D3B140C0 1803813C
	v_pk_mul_f32 v[194:195], v[60:61], v[194:195]              // 000000008D14: D3B140C2 1803853C
	v_pk_mul_f32 v[208:209], v[60:61], v[208:209]              // 000000008D1C: D3B140D0 1803A13C
	v_pk_mul_f32 v[210:211], v[60:61], v[210:211]              // 000000008D24: D3B140D2 1803A53C
	v_mul_f32_dpp v60, v38, v21 row_newbcast:1 row_mask:0xf bank_mask:0xf// 000000008D2C: 0A782AFA FF015126
	v_mov_b32_e32 v61, v60                                     // 000000008D34: 7E7A033C
	v_pk_mul_f32 v[224:225], v[60:61], v[224:225]              // 000000008D38: D3B140E0 1803C13C
	v_pk_mul_f32 v[226:227], v[60:61], v[226:227]              // 000000008D40: D3B140E2 1803C53C
	v_pk_mul_f32 v[240:241], v[60:61], v[240:241]              // 000000008D48: D3B140F0 1803E13C
	v_pk_mul_f32 v[242:243], v[60:61], v[242:243]              // 000000008D50: D3B140F2 1803E53C
	v_mul_f32_dpp v60, v38, v22 row_newbcast:0 row_mask:0xf bank_mask:0xf// 000000008D58: 0A782CFA FF015026
	v_mov_b32_e32 v61, v60                                     // 000000008D60: 7E7A033C
	v_pk_mul_f32 v[196:197], v[60:61], v[196:197]              // 000000008D64: D3B140C4 1803893C
	v_pk_mul_f32 v[198:199], v[60:61], v[198:199]              // 000000008D6C: D3B140C6 18038D3C
	v_pk_mul_f32 v[212:213], v[60:61], v[212:213]              // 000000008D74: D3B140D4 1803A93C
	v_pk_mul_f32 v[214:215], v[60:61], v[214:215]              // 000000008D7C: D3B140D6 1803AD3C
	v_mul_f32_dpp v60, v38, v22 row_newbcast:1 row_mask:0xf bank_mask:0xf// 000000008D84: 0A782CFA FF015126
	v_mov_b32_e32 v61, v60                                     // 000000008D8C: 7E7A033C
	v_pk_mul_f32 v[228:229], v[60:61], v[228:229]              // 000000008D90: D3B140E4 1803C93C
	v_pk_mul_f32 v[230:231], v[60:61], v[230:231]              // 000000008D98: D3B140E6 1803CD3C
	v_pk_mul_f32 v[244:245], v[60:61], v[244:245]              // 000000008DA0: D3B140F4 1803E93C
	v_pk_mul_f32 v[246:247], v[60:61], v[246:247]              // 000000008DA8: D3B140F6 1803ED3C
	v_mul_f32_dpp v60, v38, v23 row_newbcast:0 row_mask:0xf bank_mask:0xf// 000000008DB0: 0A782EFA FF015026
	v_mov_b32_e32 v61, v60                                     // 000000008DB8: 7E7A033C
	v_pk_mul_f32 v[200:201], v[60:61], v[200:201]              // 000000008DBC: D3B140C8 1803913C
	v_pk_mul_f32 v[202:203], v[60:61], v[202:203]              // 000000008DC4: D3B140CA 1803953C
	v_pk_mul_f32 v[216:217], v[60:61], v[216:217]              // 000000008DCC: D3B140D8 1803B13C
	v_pk_mul_f32 v[218:219], v[60:61], v[218:219]              // 000000008DD4: D3B140DA 1803B53C
	v_mul_f32_dpp v60, v38, v23 row_newbcast:1 row_mask:0xf bank_mask:0xf// 000000008DDC: 0A782EFA FF015126
	v_mov_b32_e32 v61, v60                                     // 000000008DE4: 7E7A033C
	v_pk_mul_f32 v[232:233], v[60:61], v[232:233]              // 000000008DE8: D3B140E8 1803D13C
	v_pk_mul_f32 v[234:235], v[60:61], v[234:235]              // 000000008DF0: D3B140EA 1803D53C
	v_pk_mul_f32 v[248:249], v[60:61], v[248:249]              // 000000008DF8: D3B140F8 1803F13C
	v_pk_mul_f32 v[250:251], v[60:61], v[250:251]              // 000000008E00: D3B140FA 1803F53C
	v_mul_f32_dpp v60, v38, v24 row_newbcast:0 row_mask:0xf bank_mask:0xf// 000000008E08: 0A7830FA FF015026
	v_mov_b32_e32 v61, v60                                     // 000000008E10: 7E7A033C
	v_pk_mul_f32 v[204:205], v[60:61], v[204:205]              // 000000008E14: D3B140CC 1803993C
	v_pk_mul_f32 v[206:207], v[60:61], v[206:207]              // 000000008E1C: D3B140CE 18039D3C
	v_pk_mul_f32 v[220:221], v[60:61], v[220:221]              // 000000008E24: D3B140DC 1803B93C
	v_pk_mul_f32 v[222:223], v[60:61], v[222:223]              // 000000008E2C: D3B140DE 1803BD3C
	v_mul_f32_dpp v60, v38, v24 row_newbcast:1 row_mask:0xf bank_mask:0xf// 000000008E34: 0A7830FA FF015126
	v_mov_b32_e32 v61, v60                                     // 000000008E3C: 7E7A033C
	v_pk_mul_f32 v[236:237], v[60:61], v[236:237]              // 000000008E40: D3B140EC 1803D93C
	v_pk_mul_f32 v[238:239], v[60:61], v[238:239]              // 000000008E48: D3B140EE 1803DD3C
	v_pk_mul_f32 v[252:253], v[60:61], v[252:253]              // 000000008E50: D3B140FC 1803F93C
	v_pk_mul_f32 v[254:255], v[60:61], v[254:255]              // 000000008E58: D3B140FE 1803FD3C
	s_waitcnt vmcnt(13)                                        // 000000008E60: BF8C0F7D
	v_mfma_f32_16x16x32_fp8_fp8 v[128:131], a[96:97], a[136:137], 0// 000000008E64: D3F30080 1A031160
	v_mfma_f32_16x16x32_fp8_fp8 v[128:131], a[98:99], a[138:139], v[128:131]// 000000008E6C: D3F30080 1E031562
	v_mfma_f32_16x16x32_fp8_fp8 v[132:135], a[96:97], a[152:153], 0// 000000008E74: D3F30084 1A033160
	v_mfma_f32_16x16x32_fp8_fp8 v[132:135], a[98:99], a[154:155], v[132:135]// 000000008E7C: D3F30084 1E133562
	v_mfma_f32_16x16x32_fp8_fp8 v[136:139], a[96:97], a[168:169], 0// 000000008E84: D3F30088 1A035160
	v_mfma_f32_16x16x32_fp8_fp8 v[136:139], a[98:99], a[170:171], v[136:139]// 000000008E8C: D3F30088 1E235562
	v_mfma_f32_16x16x32_fp8_fp8 v[140:143], a[96:97], a[184:185], 0// 000000008E94: D3F3008C 1A037160
	v_mfma_f32_16x16x32_fp8_fp8 v[140:143], a[98:99], a[186:187], v[140:143]// 000000008E9C: D3F3008C 1E337562
	v_mfma_f32_16x16x32_fp8_fp8 v[144:147], a[100:101], a[136:137], 0// 000000008EA4: D3F30090 1A031164
	v_mfma_f32_16x16x32_fp8_fp8 v[144:147], a[102:103], a[138:139], v[144:147]// 000000008EAC: D3F30090 1E431566
	v_mfma_f32_16x16x32_fp8_fp8 v[148:151], a[100:101], a[152:153], 0// 000000008EB4: D3F30094 1A033164
	v_mfma_f32_16x16x32_fp8_fp8 v[148:151], a[102:103], a[154:155], v[148:151]// 000000008EBC: D3F30094 1E533566
	v_mfma_f32_16x16x32_fp8_fp8 v[152:155], a[100:101], a[168:169], 0// 000000008EC4: D3F30098 1A035164
	v_mfma_f32_16x16x32_fp8_fp8 v[152:155], a[102:103], a[170:171], v[152:155]// 000000008ECC: D3F30098 1E635566
	v_mfma_f32_16x16x32_fp8_fp8 v[156:159], a[100:101], a[184:185], 0// 000000008ED4: D3F3009C 1A037164
	v_mfma_f32_16x16x32_fp8_fp8 v[156:159], a[102:103], a[186:187], v[156:159]// 000000008EDC: D3F3009C 1E737566
	s_waitcnt vmcnt(13)                                        // 000000008EE4: BF8C0F7D
	v_mfma_f32_16x16x32_fp8_fp8 v[160:163], a[104:105], a[136:137], 0// 000000008EE8: D3F300A0 1A031168
	v_mfma_f32_16x16x32_fp8_fp8 v[160:163], a[106:107], a[138:139], v[160:163]// 000000008EF0: D3F300A0 1E83156A
	v_mfma_f32_16x16x32_fp8_fp8 v[164:167], a[104:105], a[152:153], 0// 000000008EF8: D3F300A4 1A033168
	v_mfma_f32_16x16x32_fp8_fp8 v[164:167], a[106:107], a[154:155], v[164:167]// 000000008F00: D3F300A4 1E93356A
	v_mfma_f32_16x16x32_fp8_fp8 v[168:171], a[104:105], a[168:169], 0// 000000008F08: D3F300A8 1A035168
	v_mfma_f32_16x16x32_fp8_fp8 v[168:171], a[106:107], a[170:171], v[168:171]// 000000008F10: D3F300A8 1EA3556A
	v_mfma_f32_16x16x32_fp8_fp8 v[172:175], a[104:105], a[184:185], 0// 000000008F18: D3F300AC 1A037168
	v_mfma_f32_16x16x32_fp8_fp8 v[172:175], a[106:107], a[186:187], v[172:175]// 000000008F20: D3F300AC 1EB3756A
	v_mfma_f32_16x16x32_fp8_fp8 v[176:179], a[108:109], a[136:137], 0// 000000008F28: D3F300B0 1A03116C
	v_mfma_f32_16x16x32_fp8_fp8 v[176:179], a[110:111], a[138:139], v[176:179]// 000000008F30: D3F300B0 1EC3156E
	v_mfma_f32_16x16x32_fp8_fp8 v[180:183], a[108:109], a[152:153], 0// 000000008F38: D3F300B4 1A03316C
	v_mfma_f32_16x16x32_fp8_fp8 v[180:183], a[110:111], a[154:155], v[180:183]// 000000008F40: D3F300B4 1ED3356E
	v_mfma_f32_16x16x32_fp8_fp8 v[184:187], a[108:109], a[168:169], 0// 000000008F48: D3F300B8 1A03516C
	v_mfma_f32_16x16x32_fp8_fp8 v[184:187], a[110:111], a[170:171], v[184:187]// 000000008F50: D3F300B8 1EE3556E
	v_mfma_f32_16x16x32_fp8_fp8 v[188:191], a[108:109], a[184:185], 0// 000000008F58: D3F300BC 1A03716C
	v_mfma_f32_16x16x32_fp8_fp8 v[188:191], a[110:111], a[186:187], v[188:191]// 000000008F60: D3F300BC 1EF3756E
	s_waitcnt vmcnt(13)                                        // 000000008F68: BF8C0F7D
	v_mfma_f32_16x16x32_fp8_fp8 v[128:131], a[112:113], a[140:141], v[128:131]// 000000008F6C: D3F30080 1E031970
	v_mfma_f32_16x16x32_fp8_fp8 v[128:131], a[114:115], a[142:143], v[128:131]// 000000008F74: D3F30080 1E031D72
	v_mfma_f32_16x16x32_fp8_fp8 v[132:135], a[112:113], a[156:157], v[132:135]// 000000008F7C: D3F30084 1E133970
	v_mfma_f32_16x16x32_fp8_fp8 v[132:135], a[114:115], a[158:159], v[132:135]// 000000008F84: D3F30084 1E133D72
	v_mfma_f32_16x16x32_fp8_fp8 v[136:139], a[112:113], a[172:173], v[136:139]// 000000008F8C: D3F30088 1E235970
	v_mfma_f32_16x16x32_fp8_fp8 v[136:139], a[114:115], a[174:175], v[136:139]// 000000008F94: D3F30088 1E235D72
	v_mfma_f32_16x16x32_fp8_fp8 v[140:143], a[112:113], a[188:189], v[140:143]// 000000008F9C: D3F3008C 1E337970
	v_mfma_f32_16x16x32_fp8_fp8 v[140:143], a[114:115], a[190:191], v[140:143]// 000000008FA4: D3F3008C 1E337D72
	v_mfma_f32_16x16x32_fp8_fp8 v[144:147], a[116:117], a[140:141], v[144:147]// 000000008FAC: D3F30090 1E431974
	v_mfma_f32_16x16x32_fp8_fp8 v[144:147], a[118:119], a[142:143], v[144:147]// 000000008FB4: D3F30090 1E431D76
	v_mfma_f32_16x16x32_fp8_fp8 v[148:151], a[116:117], a[156:157], v[148:151]// 000000008FBC: D3F30094 1E533974
	v_mfma_f32_16x16x32_fp8_fp8 v[148:151], a[118:119], a[158:159], v[148:151]// 000000008FC4: D3F30094 1E533D76
	v_mfma_f32_16x16x32_fp8_fp8 v[152:155], a[116:117], a[172:173], v[152:155]// 000000008FCC: D3F30098 1E635974
	v_mfma_f32_16x16x32_fp8_fp8 v[152:155], a[118:119], a[174:175], v[152:155]// 000000008FD4: D3F30098 1E635D76
	v_mfma_f32_16x16x32_fp8_fp8 v[156:159], a[116:117], a[188:189], v[156:159]// 000000008FDC: D3F3009C 1E737974
	v_mfma_f32_16x16x32_fp8_fp8 v[156:159], a[118:119], a[190:191], v[156:159]// 000000008FE4: D3F3009C 1E737D76
	s_waitcnt vmcnt(13)                                        // 000000008FEC: BF8C0F7D
	v_mfma_f32_16x16x32_fp8_fp8 v[160:163], a[120:121], a[140:141], v[160:163]// 000000008FF0: D3F300A0 1E831978
	v_mfma_f32_16x16x32_fp8_fp8 v[160:163], a[122:123], a[142:143], v[160:163]// 000000008FF8: D3F300A0 1E831D7A
	v_mfma_f32_16x16x32_fp8_fp8 v[164:167], a[120:121], a[156:157], v[164:167]// 000000009000: D3F300A4 1E933978
	v_mfma_f32_16x16x32_fp8_fp8 v[164:167], a[122:123], a[158:159], v[164:167]// 000000009008: D3F300A4 1E933D7A
	v_mfma_f32_16x16x32_fp8_fp8 v[168:171], a[120:121], a[172:173], v[168:171]// 000000009010: D3F300A8 1EA35978
	v_mfma_f32_16x16x32_fp8_fp8 v[168:171], a[122:123], a[174:175], v[168:171]// 000000009018: D3F300A8 1EA35D7A
	v_mfma_f32_16x16x32_fp8_fp8 v[172:175], a[120:121], a[188:189], v[172:175]// 000000009020: D3F300AC 1EB37978
	v_mfma_f32_16x16x32_fp8_fp8 v[172:175], a[122:123], a[190:191], v[172:175]// 000000009028: D3F300AC 1EB37D7A
	v_mfma_f32_16x16x32_fp8_fp8 v[176:179], a[124:125], a[140:141], v[176:179]// 000000009030: D3F300B0 1EC3197C
	v_mfma_f32_16x16x32_fp8_fp8 v[176:179], a[126:127], a[142:143], v[176:179]// 000000009038: D3F300B0 1EC31D7E
	v_mfma_f32_16x16x32_fp8_fp8 v[180:183], a[124:125], a[156:157], v[180:183]// 000000009040: D3F300B4 1ED3397C
	v_mfma_f32_16x16x32_fp8_fp8 v[180:183], a[126:127], a[158:159], v[180:183]// 000000009048: D3F300B4 1ED33D7E
	v_mfma_f32_16x16x32_fp8_fp8 v[184:187], a[124:125], a[172:173], v[184:187]// 000000009050: D3F300B8 1EE3597C
	v_mfma_f32_16x16x32_fp8_fp8 v[184:187], a[126:127], a[174:175], v[184:187]// 000000009058: D3F300B8 1EE35D7E
	v_mfma_f32_16x16x32_fp8_fp8 v[188:191], a[124:125], a[188:189], v[188:191]// 000000009060: D3F300BC 1EF3797C
	v_mfma_f32_16x16x32_fp8_fp8 v[188:191], a[126:127], a[190:191], v[188:191]// 000000009068: D3F300BC 1EF37D7E
	v_mul_f32_dpp v60, v38, v25 row_newbcast:2 row_mask:0xf bank_mask:0xf// 000000009070: 0A7832FA FF015226
	v_mov_b32_e32 v61, v60                                     // 000000009078: 7E7A033C
	v_pk_fma_f32 v[192:193], v[128:129], v[60:61], v[192:193]  // 00000000907C: D3B040C0 1F027980
	v_pk_fma_f32 v[194:195], v[130:131], v[60:61], v[194:195]  // 000000009084: D3B040C2 1F0A7982
	v_pk_fma_f32 v[208:209], v[144:145], v[60:61], v[208:209]  // 00000000908C: D3B040D0 1F427990
	v_pk_fma_f32 v[210:211], v[146:147], v[60:61], v[210:211]  // 000000009094: D3B040D2 1F4A7992
	v_mul_f32_dpp v60, v38, v25 row_newbcast:3 row_mask:0xf bank_mask:0xf// 00000000909C: 0A7832FA FF015326
	v_mov_b32_e32 v61, v60                                     // 0000000090A4: 7E7A033C
	v_pk_fma_f32 v[224:225], v[160:161], v[60:61], v[224:225]  // 0000000090A8: D3B040E0 1F8279A0
	v_pk_fma_f32 v[226:227], v[162:163], v[60:61], v[226:227]  // 0000000090B0: D3B040E2 1F8A79A2
	v_pk_fma_f32 v[240:241], v[176:177], v[60:61], v[240:241]  // 0000000090B8: D3B040F0 1FC279B0
	v_pk_fma_f32 v[242:243], v[178:179], v[60:61], v[242:243]  // 0000000090C0: D3B040F2 1FCA79B2
	v_mul_f32_dpp v60, v38, v26 row_newbcast:2 row_mask:0xf bank_mask:0xf// 0000000090C8: 0A7834FA FF015226
	v_mov_b32_e32 v61, v60                                     // 0000000090D0: 7E7A033C
	v_pk_fma_f32 v[196:197], v[132:133], v[60:61], v[196:197]  // 0000000090D4: D3B040C4 1F127984
	v_pk_fma_f32 v[198:199], v[134:135], v[60:61], v[198:199]  // 0000000090DC: D3B040C6 1F1A7986
	v_pk_fma_f32 v[212:213], v[148:149], v[60:61], v[212:213]  // 0000000090E4: D3B040D4 1F527994
	v_pk_fma_f32 v[214:215], v[150:151], v[60:61], v[214:215]  // 0000000090EC: D3B040D6 1F5A7996
	v_mul_f32_dpp v60, v38, v26 row_newbcast:3 row_mask:0xf bank_mask:0xf// 0000000090F4: 0A7834FA FF015326
	v_mov_b32_e32 v61, v60                                     // 0000000090FC: 7E7A033C
	v_pk_fma_f32 v[228:229], v[164:165], v[60:61], v[228:229]  // 000000009100: D3B040E4 1F9279A4
	v_pk_fma_f32 v[230:231], v[166:167], v[60:61], v[230:231]  // 000000009108: D3B040E6 1F9A79A6
	v_pk_fma_f32 v[244:245], v[180:181], v[60:61], v[244:245]  // 000000009110: D3B040F4 1FD279B4
	v_pk_fma_f32 v[246:247], v[182:183], v[60:61], v[246:247]  // 000000009118: D3B040F6 1FDA79B6
	v_mul_f32_dpp v60, v38, v27 row_newbcast:2 row_mask:0xf bank_mask:0xf// 000000009120: 0A7836FA FF015226
	v_mov_b32_e32 v61, v60                                     // 000000009128: 7E7A033C
	v_pk_fma_f32 v[200:201], v[136:137], v[60:61], v[200:201]  // 00000000912C: D3B040C8 1F227988
	v_pk_fma_f32 v[202:203], v[138:139], v[60:61], v[202:203]  // 000000009134: D3B040CA 1F2A798A
	v_pk_fma_f32 v[216:217], v[152:153], v[60:61], v[216:217]  // 00000000913C: D3B040D8 1F627998
	v_pk_fma_f32 v[218:219], v[154:155], v[60:61], v[218:219]  // 000000009144: D3B040DA 1F6A799A
	v_mul_f32_dpp v60, v38, v27 row_newbcast:3 row_mask:0xf bank_mask:0xf// 00000000914C: 0A7836FA FF015326
	v_mov_b32_e32 v61, v60                                     // 000000009154: 7E7A033C
	v_pk_fma_f32 v[232:233], v[168:169], v[60:61], v[232:233]  // 000000009158: D3B040E8 1FA279A8
	v_pk_fma_f32 v[234:235], v[170:171], v[60:61], v[234:235]  // 000000009160: D3B040EA 1FAA79AA
	v_pk_fma_f32 v[248:249], v[184:185], v[60:61], v[248:249]  // 000000009168: D3B040F8 1FE279B8
	v_pk_fma_f32 v[250:251], v[186:187], v[60:61], v[250:251]  // 000000009170: D3B040FA 1FEA79BA
	v_mul_f32_dpp v60, v38, v28 row_newbcast:2 row_mask:0xf bank_mask:0xf// 000000009178: 0A7838FA FF015226
	v_mov_b32_e32 v61, v60                                     // 000000009180: 7E7A033C
	v_pk_fma_f32 v[204:205], v[140:141], v[60:61], v[204:205]  // 000000009184: D3B040CC 1F32798C
	v_pk_fma_f32 v[206:207], v[142:143], v[60:61], v[206:207]  // 00000000918C: D3B040CE 1F3A798E
	v_pk_fma_f32 v[220:221], v[156:157], v[60:61], v[220:221]  // 000000009194: D3B040DC 1F72799C
	v_pk_fma_f32 v[222:223], v[158:159], v[60:61], v[222:223]  // 00000000919C: D3B040DE 1F7A799E
	v_mul_f32_dpp v60, v38, v28 row_newbcast:3 row_mask:0xf bank_mask:0xf// 0000000091A4: 0A7838FA FF015326
	v_mov_b32_e32 v61, v60                                     // 0000000091AC: 7E7A033C
	v_pk_fma_f32 v[236:237], v[172:173], v[60:61], v[236:237]  // 0000000091B0: D3B040EC 1FB279AC
	v_pk_fma_f32 v[238:239], v[174:175], v[60:61], v[238:239]  // 0000000091B8: D3B040EE 1FBA79AE
	v_pk_fma_f32 v[252:253], v[188:189], v[60:61], v[252:253]  // 0000000091C0: D3B040FC 1FF279BC
	v_pk_fma_f32 v[254:255], v[190:191], v[60:61], v[254:255]  // 0000000091C8: D3B040FE 1FFA79BE
	s_add_u32 s56, 0x200, s76                                  // 0000000091D0: 80384CFF 00000200
	s_cmp_lt_u32 s56, s77                                      // 0000000091D8: BF0A4D38
	s_cselect_b32 s52, s52, 0                                  // 0000000091DC: 85348034
	s_cselect_b32 s74, s74, 0                                  // 0000000091E0: 854A804A
	s_cselect_b32 s75, s75, 0                                  // 0000000091E4: 854B804B
	s_add_u32 s12, s52, s12                                    // 0000000091E8: 800C0C34
	s_addc_u32 s13, 0, s13                                     // 0000000091EC: 820D0D80
	s_add_u32 s16, s75, s16                                    // 0000000091F0: 8010104B
	s_addc_u32 s17, 0, s17                                     // 0000000091F4: 82111180
	v_mov_b32_e32 v60, v39                                     // 0000000091F8: 7E780327
	v_mov_b32_e32 v61, v39                                     // 0000000091FC: 7E7A0327
	v_pk_mul_f32 v[192:193], v[60:61], v[192:193]              // 000000009200: D3B140C0 1803813C
	v_pk_mul_f32 v[194:195], v[60:61], v[194:195]              // 000000009208: D3B140C2 1803853C
	v_pk_mul_f32 v[208:209], v[60:61], v[208:209]              // 000000009210: D3B140D0 1803A13C
	v_pk_mul_f32 v[210:211], v[60:61], v[210:211]              // 000000009218: D3B140D2 1803A53C
	v_pk_mul_f32 v[224:225], v[60:61], v[224:225]              // 000000009220: D3B140E0 1803C13C
	v_pk_mul_f32 v[226:227], v[60:61], v[226:227]              // 000000009228: D3B140E2 1803C53C
	v_pk_mul_f32 v[240:241], v[60:61], v[240:241]              // 000000009230: D3B140F0 1803E13C
	v_pk_mul_f32 v[242:243], v[60:61], v[242:243]              // 000000009238: D3B140F2 1803E53C
	v_mov_b32_e32 v60, v40                                     // 000000009240: 7E780328
	v_mov_b32_e32 v61, v40                                     // 000000009244: 7E7A0328
	v_pk_mul_f32 v[196:197], v[60:61], v[196:197]              // 000000009248: D3B140C4 1803893C
	v_pk_mul_f32 v[198:199], v[60:61], v[198:199]              // 000000009250: D3B140C6 18038D3C
	v_pk_mul_f32 v[212:213], v[60:61], v[212:213]              // 000000009258: D3B140D4 1803A93C
	v_pk_mul_f32 v[214:215], v[60:61], v[214:215]              // 000000009260: D3B140D6 1803AD3C
	v_pk_mul_f32 v[228:229], v[60:61], v[228:229]              // 000000009268: D3B140E4 1803C93C
	v_pk_mul_f32 v[230:231], v[60:61], v[230:231]              // 000000009270: D3B140E6 1803CD3C
	v_pk_mul_f32 v[244:245], v[60:61], v[244:245]              // 000000009278: D3B140F4 1803E93C
	v_pk_mul_f32 v[246:247], v[60:61], v[246:247]              // 000000009280: D3B140F6 1803ED3C
	v_mov_b32_e32 v60, v41                                     // 000000009288: 7E780329
	v_mov_b32_e32 v61, v41                                     // 00000000928C: 7E7A0329
	v_pk_mul_f32 v[200:201], v[60:61], v[200:201]              // 000000009290: D3B140C8 1803913C
	v_pk_mul_f32 v[202:203], v[60:61], v[202:203]              // 000000009298: D3B140CA 1803953C
	v_pk_mul_f32 v[216:217], v[60:61], v[216:217]              // 0000000092A0: D3B140D8 1803B13C
	v_pk_mul_f32 v[218:219], v[60:61], v[218:219]              // 0000000092A8: D3B140DA 1803B53C
	v_pk_mul_f32 v[232:233], v[60:61], v[232:233]              // 0000000092B0: D3B140E8 1803D13C
	v_pk_mul_f32 v[234:235], v[60:61], v[234:235]              // 0000000092B8: D3B140EA 1803D53C
	v_pk_mul_f32 v[248:249], v[60:61], v[248:249]              // 0000000092C0: D3B140F8 1803F13C
	v_pk_mul_f32 v[250:251], v[60:61], v[250:251]              // 0000000092C8: D3B140FA 1803F53C
	v_mov_b32_e32 v60, v42                                     // 0000000092D0: 7E78032A
	v_mov_b32_e32 v61, v42                                     // 0000000092D4: 7E7A032A
	v_pk_mul_f32 v[204:205], v[60:61], v[204:205]              // 0000000092D8: D3B140CC 1803993C
	v_pk_mul_f32 v[206:207], v[60:61], v[206:207]              // 0000000092E0: D3B140CE 18039D3C
	v_pk_mul_f32 v[220:221], v[60:61], v[220:221]              // 0000000092E8: D3B140DC 1803B93C
	v_pk_mul_f32 v[222:223], v[60:61], v[222:223]              // 0000000092F0: D3B140DE 1803BD3C
	v_pk_mul_f32 v[236:237], v[60:61], v[236:237]              // 0000000092F8: D3B140EC 1803D93C
	v_pk_mul_f32 v[238:239], v[60:61], v[238:239]              // 000000009300: D3B140EE 1803DD3C
	v_pk_mul_f32 v[252:253], v[60:61], v[252:253]              // 000000009308: D3B140FC 1803F93C
	v_pk_mul_f32 v[254:255], v[60:61], v[254:255]              // 000000009310: D3B140FE 1803FD3C
	s_mov_b32 s56, 0x7060302                                   // 000000009318: BEB800FF 07060302
	v_cmp_u_f32_e64 s[48:49], v192, v192                       // 000000009320: D0480030 000381C0
	v_add3_u32 v55, v192, v58, 1                               // 000000009328: D1FF0037 020675C0
	v_cndmask_b32_e64 v60, v55, v57, s[48:49]                  // 000000009330: D100003C 00C27337
	v_cmp_u_f32_e64 s[48:49], v193, v193                       // 000000009338: D0480030 000383C1
	v_add3_u32 v55, v193, v58, 1                               // 000000009340: D1FF0037 020675C1
	v_cndmask_b32_e64 v61, v55, v57, s[48:49]                  // 000000009348: D100003D 00C27337
	v_perm_b32 v192, v61, v60, s56                             // 000000009350: D1ED00C0 00E2793D
	s_mov_b32 s56, 0x7060302                                   // 000000009358: BEB800FF 07060302
	v_cmp_u_f32_e64 s[48:49], v194, v194                       // 000000009360: D0480030 000385C2
	v_add3_u32 v55, v194, v58, 1                               // 000000009368: D1FF0037 020675C2
	v_cndmask_b32_e64 v60, v55, v57, s[48:49]                  // 000000009370: D100003C 00C27337
	v_cmp_u_f32_e64 s[48:49], v195, v195                       // 000000009378: D0480030 000387C3
	v_add3_u32 v55, v195, v58, 1                               // 000000009380: D1FF0037 020675C3
	v_cndmask_b32_e64 v61, v55, v57, s[48:49]                  // 000000009388: D100003D 00C27337
	v_perm_b32 v193, v61, v60, s56                             // 000000009390: D1ED00C1 00E2793D
	s_mov_b32 s56, 0x7060302                                   // 000000009398: BEB800FF 07060302
	v_cmp_u_f32_e64 s[48:49], v196, v196                       // 0000000093A0: D0480030 000389C4
	v_add3_u32 v55, v196, v58, 1                               // 0000000093A8: D1FF0037 020675C4
	v_cndmask_b32_e64 v60, v55, v57, s[48:49]                  // 0000000093B0: D100003C 00C27337
	v_cmp_u_f32_e64 s[48:49], v197, v197                       // 0000000093B8: D0480030 00038BC5
	v_add3_u32 v55, v197, v58, 1                               // 0000000093C0: D1FF0037 020675C5
	v_cndmask_b32_e64 v61, v55, v57, s[48:49]                  // 0000000093C8: D100003D 00C27337
	v_perm_b32 v194, v61, v60, s56                             // 0000000093D0: D1ED00C2 00E2793D
	s_mov_b32 s56, 0x7060302                                   // 0000000093D8: BEB800FF 07060302
	v_cmp_u_f32_e64 s[48:49], v198, v198                       // 0000000093E0: D0480030 00038DC6
	v_add3_u32 v55, v198, v58, 1                               // 0000000093E8: D1FF0037 020675C6
	v_cndmask_b32_e64 v60, v55, v57, s[48:49]                  // 0000000093F0: D100003C 00C27337
	v_cmp_u_f32_e64 s[48:49], v199, v199                       // 0000000093F8: D0480030 00038FC7
	v_add3_u32 v55, v199, v58, 1                               // 000000009400: D1FF0037 020675C7
	v_cndmask_b32_e64 v61, v55, v57, s[48:49]                  // 000000009408: D100003D 00C27337
	v_perm_b32 v195, v61, v60, s56                             // 000000009410: D1ED00C3 00E2793D
	s_mov_b32 s56, 0x7060302                                   // 000000009418: BEB800FF 07060302
	v_cmp_u_f32_e64 s[48:49], v200, v200                       // 000000009420: D0480030 000391C8
	v_add3_u32 v55, v200, v58, 1                               // 000000009428: D1FF0037 020675C8
	v_cndmask_b32_e64 v60, v55, v57, s[48:49]                  // 000000009430: D100003C 00C27337
	v_cmp_u_f32_e64 s[48:49], v201, v201                       // 000000009438: D0480030 000393C9
	v_add3_u32 v55, v201, v58, 1                               // 000000009440: D1FF0037 020675C9
	v_cndmask_b32_e64 v61, v55, v57, s[48:49]                  // 000000009448: D100003D 00C27337
	v_perm_b32 v196, v61, v60, s56                             // 000000009450: D1ED00C4 00E2793D
	s_mov_b32 s56, 0x7060302                                   // 000000009458: BEB800FF 07060302
	v_cmp_u_f32_e64 s[48:49], v202, v202                       // 000000009460: D0480030 000395CA
	v_add3_u32 v55, v202, v58, 1                               // 000000009468: D1FF0037 020675CA
	v_cndmask_b32_e64 v60, v55, v57, s[48:49]                  // 000000009470: D100003C 00C27337
	v_cmp_u_f32_e64 s[48:49], v203, v203                       // 000000009478: D0480030 000397CB
	v_add3_u32 v55, v203, v58, 1                               // 000000009480: D1FF0037 020675CB
	v_cndmask_b32_e64 v61, v55, v57, s[48:49]                  // 000000009488: D100003D 00C27337
	v_perm_b32 v197, v61, v60, s56                             // 000000009490: D1ED00C5 00E2793D
	s_mov_b32 s56, 0x7060302                                   // 000000009498: BEB800FF 07060302
	v_cmp_u_f32_e64 s[48:49], v204, v204                       // 0000000094A0: D0480030 000399CC
	v_add3_u32 v55, v204, v58, 1                               // 0000000094A8: D1FF0037 020675CC
	v_cndmask_b32_e64 v60, v55, v57, s[48:49]                  // 0000000094B0: D100003C 00C27337
	v_cmp_u_f32_e64 s[48:49], v205, v205                       // 0000000094B8: D0480030 00039BCD
	v_add3_u32 v55, v205, v58, 1                               // 0000000094C0: D1FF0037 020675CD
	v_cndmask_b32_e64 v61, v55, v57, s[48:49]                  // 0000000094C8: D100003D 00C27337
	v_perm_b32 v198, v61, v60, s56                             // 0000000094D0: D1ED00C6 00E2793D
	s_mov_b32 s56, 0x7060302                                   // 0000000094D8: BEB800FF 07060302
	v_cmp_u_f32_e64 s[48:49], v206, v206                       // 0000000094E0: D0480030 00039DCE
	v_add3_u32 v55, v206, v58, 1                               // 0000000094E8: D1FF0037 020675CE
	v_cndmask_b32_e64 v60, v55, v57, s[48:49]                  // 0000000094F0: D100003C 00C27337
	v_cmp_u_f32_e64 s[48:49], v207, v207                       // 0000000094F8: D0480030 00039FCF
	v_add3_u32 v55, v207, v58, 1                               // 000000009500: D1FF0037 020675CF
	v_cndmask_b32_e64 v61, v55, v57, s[48:49]                  // 000000009508: D100003D 00C27337
	v_perm_b32 v199, v61, v60, s56                             // 000000009510: D1ED00C7 00E2793D
	s_mov_b32 s56, 0x7060302                                   // 000000009518: BEB800FF 07060302
	v_cmp_u_f32_e64 s[48:49], v208, v208                       // 000000009520: D0480030 0003A1D0
	v_add3_u32 v55, v208, v58, 1                               // 000000009528: D1FF0037 020675D0
	v_cndmask_b32_e64 v60, v55, v57, s[48:49]                  // 000000009530: D100003C 00C27337
	v_cmp_u_f32_e64 s[48:49], v209, v209                       // 000000009538: D0480030 0003A3D1
	v_add3_u32 v55, v209, v58, 1                               // 000000009540: D1FF0037 020675D1
	v_cndmask_b32_e64 v61, v55, v57, s[48:49]                  // 000000009548: D100003D 00C27337
	v_perm_b32 v200, v61, v60, s56                             // 000000009550: D1ED00C8 00E2793D
	s_mov_b32 s56, 0x7060302                                   // 000000009558: BEB800FF 07060302
	v_cmp_u_f32_e64 s[48:49], v210, v210                       // 000000009560: D0480030 0003A5D2
	v_add3_u32 v55, v210, v58, 1                               // 000000009568: D1FF0037 020675D2
	v_cndmask_b32_e64 v60, v55, v57, s[48:49]                  // 000000009570: D100003C 00C27337
	v_cmp_u_f32_e64 s[48:49], v211, v211                       // 000000009578: D0480030 0003A7D3
	v_add3_u32 v55, v211, v58, 1                               // 000000009580: D1FF0037 020675D3
	v_cndmask_b32_e64 v61, v55, v57, s[48:49]                  // 000000009588: D100003D 00C27337
	v_perm_b32 v201, v61, v60, s56                             // 000000009590: D1ED00C9 00E2793D
	s_mov_b32 s56, 0x7060302                                   // 000000009598: BEB800FF 07060302
	v_cmp_u_f32_e64 s[48:49], v212, v212                       // 0000000095A0: D0480030 0003A9D4
	v_add3_u32 v55, v212, v58, 1                               // 0000000095A8: D1FF0037 020675D4
	v_cndmask_b32_e64 v60, v55, v57, s[48:49]                  // 0000000095B0: D100003C 00C27337
	v_cmp_u_f32_e64 s[48:49], v213, v213                       // 0000000095B8: D0480030 0003ABD5
	v_add3_u32 v55, v213, v58, 1                               // 0000000095C0: D1FF0037 020675D5
	v_cndmask_b32_e64 v61, v55, v57, s[48:49]                  // 0000000095C8: D100003D 00C27337
	v_perm_b32 v202, v61, v60, s56                             // 0000000095D0: D1ED00CA 00E2793D
	s_mov_b32 s56, 0x7060302                                   // 0000000095D8: BEB800FF 07060302
	v_cmp_u_f32_e64 s[48:49], v214, v214                       // 0000000095E0: D0480030 0003ADD6
	v_add3_u32 v55, v214, v58, 1                               // 0000000095E8: D1FF0037 020675D6
	v_cndmask_b32_e64 v60, v55, v57, s[48:49]                  // 0000000095F0: D100003C 00C27337
	v_cmp_u_f32_e64 s[48:49], v215, v215                       // 0000000095F8: D0480030 0003AFD7
	v_add3_u32 v55, v215, v58, 1                               // 000000009600: D1FF0037 020675D7
	v_cndmask_b32_e64 v61, v55, v57, s[48:49]                  // 000000009608: D100003D 00C27337
	v_perm_b32 v203, v61, v60, s56                             // 000000009610: D1ED00CB 00E2793D
	s_mov_b32 s56, 0x7060302                                   // 000000009618: BEB800FF 07060302
	v_cmp_u_f32_e64 s[48:49], v216, v216                       // 000000009620: D0480030 0003B1D8
	v_add3_u32 v55, v216, v58, 1                               // 000000009628: D1FF0037 020675D8
	v_cndmask_b32_e64 v60, v55, v57, s[48:49]                  // 000000009630: D100003C 00C27337
	v_cmp_u_f32_e64 s[48:49], v217, v217                       // 000000009638: D0480030 0003B3D9
	v_add3_u32 v55, v217, v58, 1                               // 000000009640: D1FF0037 020675D9
	v_cndmask_b32_e64 v61, v55, v57, s[48:49]                  // 000000009648: D100003D 00C27337
	v_perm_b32 v204, v61, v60, s56                             // 000000009650: D1ED00CC 00E2793D
	s_mov_b32 s56, 0x7060302                                   // 000000009658: BEB800FF 07060302
	v_cmp_u_f32_e64 s[48:49], v218, v218                       // 000000009660: D0480030 0003B5DA
	v_add3_u32 v55, v218, v58, 1                               // 000000009668: D1FF0037 020675DA
	v_cndmask_b32_e64 v60, v55, v57, s[48:49]                  // 000000009670: D100003C 00C27337
	v_cmp_u_f32_e64 s[48:49], v219, v219                       // 000000009678: D0480030 0003B7DB
	v_add3_u32 v55, v219, v58, 1                               // 000000009680: D1FF0037 020675DB
	v_cndmask_b32_e64 v61, v55, v57, s[48:49]                  // 000000009688: D100003D 00C27337
	v_perm_b32 v205, v61, v60, s56                             // 000000009690: D1ED00CD 00E2793D
	s_mov_b32 s56, 0x7060302                                   // 000000009698: BEB800FF 07060302
	v_cmp_u_f32_e64 s[48:49], v220, v220                       // 0000000096A0: D0480030 0003B9DC
	v_add3_u32 v55, v220, v58, 1                               // 0000000096A8: D1FF0037 020675DC
	v_cndmask_b32_e64 v60, v55, v57, s[48:49]                  // 0000000096B0: D100003C 00C27337
	v_cmp_u_f32_e64 s[48:49], v221, v221                       // 0000000096B8: D0480030 0003BBDD
	v_add3_u32 v55, v221, v58, 1                               // 0000000096C0: D1FF0037 020675DD
	v_cndmask_b32_e64 v61, v55, v57, s[48:49]                  // 0000000096C8: D100003D 00C27337
	v_perm_b32 v206, v61, v60, s56                             // 0000000096D0: D1ED00CE 00E2793D
	s_mov_b32 s56, 0x7060302                                   // 0000000096D8: BEB800FF 07060302
	v_cmp_u_f32_e64 s[48:49], v222, v222                       // 0000000096E0: D0480030 0003BDDE
	v_add3_u32 v55, v222, v58, 1                               // 0000000096E8: D1FF0037 020675DE
	v_cndmask_b32_e64 v60, v55, v57, s[48:49]                  // 0000000096F0: D100003C 00C27337
	v_cmp_u_f32_e64 s[48:49], v223, v223                       // 0000000096F8: D0480030 0003BFDF
	v_add3_u32 v55, v223, v58, 1                               // 000000009700: D1FF0037 020675DF
	v_cndmask_b32_e64 v61, v55, v57, s[48:49]                  // 000000009708: D100003D 00C27337
	v_perm_b32 v207, v61, v60, s56                             // 000000009710: D1ED00CF 00E2793D
	s_mov_b32 s56, 0x7060302                                   // 000000009718: BEB800FF 07060302
	v_cmp_u_f32_e64 s[48:49], v224, v224                       // 000000009720: D0480030 0003C1E0
	v_add3_u32 v55, v224, v58, 1                               // 000000009728: D1FF0037 020675E0
	v_cndmask_b32_e64 v60, v55, v57, s[48:49]                  // 000000009730: D100003C 00C27337
	v_cmp_u_f32_e64 s[48:49], v225, v225                       // 000000009738: D0480030 0003C3E1
	v_add3_u32 v55, v225, v58, 1                               // 000000009740: D1FF0037 020675E1
	v_cndmask_b32_e64 v61, v55, v57, s[48:49]                  // 000000009748: D100003D 00C27337
	v_perm_b32 v208, v61, v60, s56                             // 000000009750: D1ED00D0 00E2793D
	s_mov_b32 s56, 0x7060302                                   // 000000009758: BEB800FF 07060302
	v_cmp_u_f32_e64 s[48:49], v226, v226                       // 000000009760: D0480030 0003C5E2
	v_add3_u32 v55, v226, v58, 1                               // 000000009768: D1FF0037 020675E2
	v_cndmask_b32_e64 v60, v55, v57, s[48:49]                  // 000000009770: D100003C 00C27337
	v_cmp_u_f32_e64 s[48:49], v227, v227                       // 000000009778: D0480030 0003C7E3
	v_add3_u32 v55, v227, v58, 1                               // 000000009780: D1FF0037 020675E3
	v_cndmask_b32_e64 v61, v55, v57, s[48:49]                  // 000000009788: D100003D 00C27337
	v_perm_b32 v209, v61, v60, s56                             // 000000009790: D1ED00D1 00E2793D
	s_mov_b32 s56, 0x7060302                                   // 000000009798: BEB800FF 07060302
	v_cmp_u_f32_e64 s[48:49], v228, v228                       // 0000000097A0: D0480030 0003C9E4
	v_add3_u32 v55, v228, v58, 1                               // 0000000097A8: D1FF0037 020675E4
	v_cndmask_b32_e64 v60, v55, v57, s[48:49]                  // 0000000097B0: D100003C 00C27337
	v_cmp_u_f32_e64 s[48:49], v229, v229                       // 0000000097B8: D0480030 0003CBE5
	v_add3_u32 v55, v229, v58, 1                               // 0000000097C0: D1FF0037 020675E5
	v_cndmask_b32_e64 v61, v55, v57, s[48:49]                  // 0000000097C8: D100003D 00C27337
	v_perm_b32 v210, v61, v60, s56                             // 0000000097D0: D1ED00D2 00E2793D
	s_mov_b32 s56, 0x7060302                                   // 0000000097D8: BEB800FF 07060302
	v_cmp_u_f32_e64 s[48:49], v230, v230                       // 0000000097E0: D0480030 0003CDE6
	v_add3_u32 v55, v230, v58, 1                               // 0000000097E8: D1FF0037 020675E6
	v_cndmask_b32_e64 v60, v55, v57, s[48:49]                  // 0000000097F0: D100003C 00C27337
	v_cmp_u_f32_e64 s[48:49], v231, v231                       // 0000000097F8: D0480030 0003CFE7
	v_add3_u32 v55, v231, v58, 1                               // 000000009800: D1FF0037 020675E7
	v_cndmask_b32_e64 v61, v55, v57, s[48:49]                  // 000000009808: D100003D 00C27337
	v_perm_b32 v211, v61, v60, s56                             // 000000009810: D1ED00D3 00E2793D
	s_mov_b32 s56, 0x7060302                                   // 000000009818: BEB800FF 07060302
	v_cmp_u_f32_e64 s[48:49], v232, v232                       // 000000009820: D0480030 0003D1E8
	v_add3_u32 v55, v232, v58, 1                               // 000000009828: D1FF0037 020675E8
	v_cndmask_b32_e64 v60, v55, v57, s[48:49]                  // 000000009830: D100003C 00C27337
	v_cmp_u_f32_e64 s[48:49], v233, v233                       // 000000009838: D0480030 0003D3E9
	v_add3_u32 v55, v233, v58, 1                               // 000000009840: D1FF0037 020675E9
	v_cndmask_b32_e64 v61, v55, v57, s[48:49]                  // 000000009848: D100003D 00C27337
	v_perm_b32 v212, v61, v60, s56                             // 000000009850: D1ED00D4 00E2793D
	s_mov_b32 s56, 0x7060302                                   // 000000009858: BEB800FF 07060302
	v_cmp_u_f32_e64 s[48:49], v234, v234                       // 000000009860: D0480030 0003D5EA
	v_add3_u32 v55, v234, v58, 1                               // 000000009868: D1FF0037 020675EA
	v_cndmask_b32_e64 v60, v55, v57, s[48:49]                  // 000000009870: D100003C 00C27337
	v_cmp_u_f32_e64 s[48:49], v235, v235                       // 000000009878: D0480030 0003D7EB
	v_add3_u32 v55, v235, v58, 1                               // 000000009880: D1FF0037 020675EB
	v_cndmask_b32_e64 v61, v55, v57, s[48:49]                  // 000000009888: D100003D 00C27337
	v_perm_b32 v213, v61, v60, s56                             // 000000009890: D1ED00D5 00E2793D
	s_mov_b32 s56, 0x7060302                                   // 000000009898: BEB800FF 07060302
	v_cmp_u_f32_e64 s[48:49], v236, v236                       // 0000000098A0: D0480030 0003D9EC
	v_add3_u32 v55, v236, v58, 1                               // 0000000098A8: D1FF0037 020675EC
	v_cndmask_b32_e64 v60, v55, v57, s[48:49]                  // 0000000098B0: D100003C 00C27337
	v_cmp_u_f32_e64 s[48:49], v237, v237                       // 0000000098B8: D0480030 0003DBED
	v_add3_u32 v55, v237, v58, 1                               // 0000000098C0: D1FF0037 020675ED
	v_cndmask_b32_e64 v61, v55, v57, s[48:49]                  // 0000000098C8: D100003D 00C27337
	v_perm_b32 v214, v61, v60, s56                             // 0000000098D0: D1ED00D6 00E2793D
	s_mov_b32 s56, 0x7060302                                   // 0000000098D8: BEB800FF 07060302
	v_cmp_u_f32_e64 s[48:49], v238, v238                       // 0000000098E0: D0480030 0003DDEE
	v_add3_u32 v55, v238, v58, 1                               // 0000000098E8: D1FF0037 020675EE
	v_cndmask_b32_e64 v60, v55, v57, s[48:49]                  // 0000000098F0: D100003C 00C27337
	v_cmp_u_f32_e64 s[48:49], v239, v239                       // 0000000098F8: D0480030 0003DFEF
	v_add3_u32 v55, v239, v58, 1                               // 000000009900: D1FF0037 020675EF
	v_cndmask_b32_e64 v61, v55, v57, s[48:49]                  // 000000009908: D100003D 00C27337
	v_perm_b32 v215, v61, v60, s56                             // 000000009910: D1ED00D7 00E2793D
	s_mov_b32 s56, 0x7060302                                   // 000000009918: BEB800FF 07060302
	v_cmp_u_f32_e64 s[48:49], v240, v240                       // 000000009920: D0480030 0003E1F0
	v_add3_u32 v55, v240, v58, 1                               // 000000009928: D1FF0037 020675F0
	v_cndmask_b32_e64 v60, v55, v57, s[48:49]                  // 000000009930: D100003C 00C27337
	v_cmp_u_f32_e64 s[48:49], v241, v241                       // 000000009938: D0480030 0003E3F1
	v_add3_u32 v55, v241, v58, 1                               // 000000009940: D1FF0037 020675F1
	v_cndmask_b32_e64 v61, v55, v57, s[48:49]                  // 000000009948: D100003D 00C27337
	v_perm_b32 v216, v61, v60, s56                             // 000000009950: D1ED00D8 00E2793D
	s_mov_b32 s56, 0x7060302                                   // 000000009958: BEB800FF 07060302
	v_cmp_u_f32_e64 s[48:49], v242, v242                       // 000000009960: D0480030 0003E5F2
	v_add3_u32 v55, v242, v58, 1                               // 000000009968: D1FF0037 020675F2
	v_cndmask_b32_e64 v60, v55, v57, s[48:49]                  // 000000009970: D100003C 00C27337
	v_cmp_u_f32_e64 s[48:49], v243, v243                       // 000000009978: D0480030 0003E7F3
	v_add3_u32 v55, v243, v58, 1                               // 000000009980: D1FF0037 020675F3
	v_cndmask_b32_e64 v61, v55, v57, s[48:49]                  // 000000009988: D100003D 00C27337
	v_perm_b32 v217, v61, v60, s56                             // 000000009990: D1ED00D9 00E2793D
	s_mov_b32 s56, 0x7060302                                   // 000000009998: BEB800FF 07060302
	v_cmp_u_f32_e64 s[48:49], v244, v244                       // 0000000099A0: D0480030 0003E9F4
	v_add3_u32 v55, v244, v58, 1                               // 0000000099A8: D1FF0037 020675F4
	v_cndmask_b32_e64 v60, v55, v57, s[48:49]                  // 0000000099B0: D100003C 00C27337
	v_cmp_u_f32_e64 s[48:49], v245, v245                       // 0000000099B8: D0480030 0003EBF5
	v_add3_u32 v55, v245, v58, 1                               // 0000000099C0: D1FF0037 020675F5
	v_cndmask_b32_e64 v61, v55, v57, s[48:49]                  // 0000000099C8: D100003D 00C27337
	v_perm_b32 v218, v61, v60, s56                             // 0000000099D0: D1ED00DA 00E2793D
	s_mov_b32 s56, 0x7060302                                   // 0000000099D8: BEB800FF 07060302
	v_cmp_u_f32_e64 s[48:49], v246, v246                       // 0000000099E0: D0480030 0003EDF6
	v_add3_u32 v55, v246, v58, 1                               // 0000000099E8: D1FF0037 020675F6
	v_cndmask_b32_e64 v60, v55, v57, s[48:49]                  // 0000000099F0: D100003C 00C27337
	v_cmp_u_f32_e64 s[48:49], v247, v247                       // 0000000099F8: D0480030 0003EFF7
	v_add3_u32 v55, v247, v58, 1                               // 000000009A00: D1FF0037 020675F7
	v_cndmask_b32_e64 v61, v55, v57, s[48:49]                  // 000000009A08: D100003D 00C27337
	v_perm_b32 v219, v61, v60, s56                             // 000000009A10: D1ED00DB 00E2793D
	s_mov_b32 s56, 0x7060302                                   // 000000009A18: BEB800FF 07060302
	v_cmp_u_f32_e64 s[48:49], v248, v248                       // 000000009A20: D0480030 0003F1F8
	v_add3_u32 v55, v248, v58, 1                               // 000000009A28: D1FF0037 020675F8
	v_cndmask_b32_e64 v60, v55, v57, s[48:49]                  // 000000009A30: D100003C 00C27337
	v_cmp_u_f32_e64 s[48:49], v249, v249                       // 000000009A38: D0480030 0003F3F9
	v_add3_u32 v55, v249, v58, 1                               // 000000009A40: D1FF0037 020675F9
	v_cndmask_b32_e64 v61, v55, v57, s[48:49]                  // 000000009A48: D100003D 00C27337
	v_perm_b32 v220, v61, v60, s56                             // 000000009A50: D1ED00DC 00E2793D
	s_mov_b32 s56, 0x7060302                                   // 000000009A58: BEB800FF 07060302
	v_cmp_u_f32_e64 s[48:49], v250, v250                       // 000000009A60: D0480030 0003F5FA
	v_add3_u32 v55, v250, v58, 1                               // 000000009A68: D1FF0037 020675FA
	v_cndmask_b32_e64 v60, v55, v57, s[48:49]                  // 000000009A70: D100003C 00C27337
	v_cmp_u_f32_e64 s[48:49], v251, v251                       // 000000009A78: D0480030 0003F7FB
	v_add3_u32 v55, v251, v58, 1                               // 000000009A80: D1FF0037 020675FB
	v_cndmask_b32_e64 v61, v55, v57, s[48:49]                  // 000000009A88: D100003D 00C27337
	v_perm_b32 v221, v61, v60, s56                             // 000000009A90: D1ED00DD 00E2793D
	s_mov_b32 s56, 0x7060302                                   // 000000009A98: BEB800FF 07060302
	v_cmp_u_f32_e64 s[48:49], v252, v252                       // 000000009AA0: D0480030 0003F9FC
	v_add3_u32 v55, v252, v58, 1                               // 000000009AA8: D1FF0037 020675FC
	v_cndmask_b32_e64 v60, v55, v57, s[48:49]                  // 000000009AB0: D100003C 00C27337
	v_cmp_u_f32_e64 s[48:49], v253, v253                       // 000000009AB8: D0480030 0003FBFD
	v_add3_u32 v55, v253, v58, 1                               // 000000009AC0: D1FF0037 020675FD
	v_cndmask_b32_e64 v61, v55, v57, s[48:49]                  // 000000009AC8: D100003D 00C27337
	v_perm_b32 v222, v61, v60, s56                             // 000000009AD0: D1ED00DE 00E2793D
	s_mov_b32 s56, 0x7060302                                   // 000000009AD8: BEB800FF 07060302
	v_cmp_u_f32_e64 s[48:49], v254, v254                       // 000000009AE0: D0480030 0003FDFE
	v_add3_u32 v55, v254, v58, 1                               // 000000009AE8: D1FF0037 020675FE
	v_cndmask_b32_e64 v60, v55, v57, s[48:49]                  // 000000009AF0: D100003C 00C27337
	v_cmp_u_f32_e64 s[48:49], v255, v255                       // 000000009AF8: D0480030 0003FFFF
	v_add3_u32 v55, v255, v58, 1                               // 000000009B00: D1FF0037 020675FF
	v_cndmask_b32_e64 v61, v55, v57, s[48:49]                  // 000000009B08: D100003D 00C27337
	v_perm_b32 v223, v61, v60, s56                             // 000000009B10: D1ED00DF 00E2793D
	ds_write_b64 v4, v[192:193]                                // 000000009B18: D89A0000 0000C004
	ds_write_b64 v4, v[194:195] offset:8704                    // 000000009B20: D89A2200 0000C204
	ds_write_b64 v5, v[196:197]                                // 000000009B28: D89A0000 0000C405
	ds_write_b64 v5, v[198:199] offset:8704                    // 000000009B30: D89A2200 0000C605
	ds_write_b64 v4, v[200:201] offset:2176                    // 000000009B38: D89A0880 0000C804
	ds_write_b64 v4, v[202:203] offset:10880                   // 000000009B40: D89A2A80 0000CA04
	ds_write_b64 v5, v[204:205] offset:2176                    // 000000009B48: D89A0880 0000CC05
	ds_write_b64 v5, v[206:207] offset:10880                   // 000000009B50: D89A2A80 0000CE05
	ds_write_b64 v4, v[208:209] offset:4352                    // 000000009B58: D89A1100 0000D004
	ds_write_b64 v4, v[210:211] offset:13056                   // 000000009B60: D89A3300 0000D204
	ds_write_b64 v5, v[212:213] offset:4352                    // 000000009B68: D89A1100 0000D405
	ds_write_b64 v5, v[214:215] offset:13056                   // 000000009B70: D89A3300 0000D605
	ds_write_b64 v4, v[216:217] offset:6528                    // 000000009B78: D89A1980 0000D804
	ds_write_b64 v4, v[218:219] offset:15232                   // 000000009B80: D89A3B80 0000DA04
	ds_write_b64 v5, v[220:221] offset:6528                    // 000000009B88: D89A1980 0000DC05
	ds_write_b64 v5, v[222:223] offset:15232                   // 000000009B90: D89A3B80 0000DE05
	s_waitcnt lgkmcnt(0)                                       // 000000009B98: BF8CC07F
	s_barrier                                                  // 000000009B9C: BF8A0000
	ds_read_b32 v64, v6                                        // 000000009BA0: D86C0000 40000006
	ds_read_b32 v65, v6 offset:4352                            // 000000009BA8: D86C1100 41000006
	ds_read_b32 v66, v6 offset:32                              // 000000009BB0: D86C0020 42000006
	ds_read_b32 v67, v6 offset:4384                            // 000000009BB8: D86C1120 43000006
	ds_read_b32 v68, v6 offset:64                              // 000000009BC0: D86C0040 44000006
	ds_read_b32 v69, v6 offset:4416                            // 000000009BC8: D86C1140 45000006
	ds_read_b32 v70, v6 offset:96                              // 000000009BD0: D86C0060 46000006
	ds_read_b32 v71, v6 offset:4448                            // 000000009BD8: D86C1160 47000006
	ds_read_b32 v72, v6 offset:8704                            // 000000009BE0: D86C2200 48000006
	ds_read_b32 v73, v6 offset:13056                           // 000000009BE8: D86C3300 49000006
	ds_read_b32 v74, v6 offset:8736                            // 000000009BF0: D86C2220 4A000006
	ds_read_b32 v75, v6 offset:13088                           // 000000009BF8: D86C3320 4B000006
	ds_read_b32 v76, v6 offset:8768                            // 000000009C00: D86C2240 4C000006
	ds_read_b32 v77, v6 offset:13120                           // 000000009C08: D86C3340 4D000006
	ds_read_b32 v78, v6 offset:8800                            // 000000009C10: D86C2260 4E000006
	ds_read_b32 v79, v6 offset:13152                           // 000000009C18: D86C3360 4F000006
	ds_read_b32 v80, v7                                        // 000000009C20: D86C0000 50000007
	ds_read_b32 v81, v7 offset:4352                            // 000000009C28: D86C1100 51000007
	ds_read_b32 v82, v7 offset:32                              // 000000009C30: D86C0020 52000007
	ds_read_b32 v83, v7 offset:4384                            // 000000009C38: D86C1120 53000007
	ds_read_b32 v84, v7 offset:64                              // 000000009C40: D86C0040 54000007
	ds_read_b32 v85, v7 offset:4416                            // 000000009C48: D86C1140 55000007
	ds_read_b32 v86, v7 offset:96                              // 000000009C50: D86C0060 56000007
	ds_read_b32 v87, v7 offset:4448                            // 000000009C58: D86C1160 57000007
	ds_read_b32 v88, v7 offset:8704                            // 000000009C60: D86C2200 58000007
	ds_read_b32 v89, v7 offset:13056                           // 000000009C68: D86C3300 59000007
	ds_read_b32 v90, v7 offset:8736                            // 000000009C70: D86C2220 5A000007
	ds_read_b32 v91, v7 offset:13088                           // 000000009C78: D86C3320 5B000007
	ds_read_b32 v92, v7 offset:8768                            // 000000009C80: D86C2240 5C000007
	ds_read_b32 v93, v7 offset:13120                           // 000000009C88: D86C3340 5D000007
	ds_read_b32 v94, v7 offset:8800                            // 000000009C90: D86C2260 5E000007
	ds_read_b32 v95, v7 offset:13152                           // 000000009C98: D86C3360 5F000007
	s_waitcnt lgkmcnt(0)                                       // 000000009CA0: BF8CC07F
	s_setvskip s20, 0                                          // 000000009CA4: BF108014
	global_atomic_pk_add_bf16 v96, v64, s[8:9]                 // 000000009CA8: DD488000 00084060
	s_setvskip 0, 0                                            // 000000009CB0: BF108080
	s_setvskip s20, 0                                          // 000000009CB4: BF108014
	global_atomic_pk_add_bf16 v96, v65, s[8:9] offset:256      // 000000009CB8: DD488100 00084160
	s_setvskip 0, 0                                            // 000000009CC0: BF108080
	s_setvskip s20, 1                                          // 000000009CC4: BF108114
	global_atomic_pk_add_bf16 v98, v66, s[8:9]                 // 000000009CC8: DD488000 00084262
	s_setvskip 0, 0                                            // 000000009CD0: BF108080
	s_setvskip s20, 1                                          // 000000009CD4: BF108114
	global_atomic_pk_add_bf16 v98, v67, s[8:9] offset:256      // 000000009CD8: DD488100 00084362
	s_setvskip 0, 0                                            // 000000009CE0: BF108080
	s_setvskip s20, 2                                          // 000000009CE4: BF108214
	global_atomic_pk_add_bf16 v100, v68, s[8:9]                // 000000009CE8: DD488000 00084464
	s_setvskip 0, 0                                            // 000000009CF0: BF108080
	s_setvskip s20, 2                                          // 000000009CF4: BF108214
	global_atomic_pk_add_bf16 v100, v69, s[8:9] offset:256     // 000000009CF8: DD488100 00084564
	s_setvskip 0, 0                                            // 000000009D00: BF108080
	s_setvskip s20, 3                                          // 000000009D04: BF108314
	global_atomic_pk_add_bf16 v102, v70, s[8:9]                // 000000009D08: DD488000 00084666
	s_setvskip 0, 0                                            // 000000009D10: BF108080
	s_setvskip s20, 3                                          // 000000009D14: BF108314
	global_atomic_pk_add_bf16 v102, v71, s[8:9] offset:256     // 000000009D18: DD488100 00084766
	s_setvskip 0, 0                                            // 000000009D20: BF108080
	s_setvskip s20, 4                                          // 000000009D24: BF108414
	global_atomic_pk_add_bf16 v104, v72, s[8:9]                // 000000009D28: DD488000 00084868
	s_setvskip 0, 0                                            // 000000009D30: BF108080
	s_setvskip s20, 4                                          // 000000009D34: BF108414
	global_atomic_pk_add_bf16 v104, v73, s[8:9] offset:256     // 000000009D38: DD488100 00084968
	s_setvskip 0, 0                                            // 000000009D40: BF108080
	s_setvskip s20, 5                                          // 000000009D44: BF108514
	global_atomic_pk_add_bf16 v106, v74, s[8:9]                // 000000009D48: DD488000 00084A6A
	s_setvskip 0, 0                                            // 000000009D50: BF108080
	s_setvskip s20, 5                                          // 000000009D54: BF108514
	global_atomic_pk_add_bf16 v106, v75, s[8:9] offset:256     // 000000009D58: DD488100 00084B6A
	s_setvskip 0, 0                                            // 000000009D60: BF108080
	s_setvskip s20, 6                                          // 000000009D64: BF108614
	global_atomic_pk_add_bf16 v108, v76, s[8:9]                // 000000009D68: DD488000 00084C6C
	s_setvskip 0, 0                                            // 000000009D70: BF108080
	s_setvskip s20, 6                                          // 000000009D74: BF108614
	global_atomic_pk_add_bf16 v108, v77, s[8:9] offset:256     // 000000009D78: DD488100 00084D6C
	s_setvskip 0, 0                                            // 000000009D80: BF108080
	s_setvskip s20, 7                                          // 000000009D84: BF108714
	global_atomic_pk_add_bf16 v110, v78, s[8:9]                // 000000009D88: DD488000 00084E6E
	s_setvskip 0, 0                                            // 000000009D90: BF108080
	s_setvskip s20, 7                                          // 000000009D94: BF108714
	global_atomic_pk_add_bf16 v110, v79, s[8:9] offset:256     // 000000009D98: DD488100 00084F6E
	s_setvskip 0, 0                                            // 000000009DA0: BF108080
	s_setvskip s20, 8                                          // 000000009DA4: BF108814
	global_atomic_pk_add_bf16 v112, v80, s[8:9]                // 000000009DA8: DD488000 00085070
	s_setvskip 0, 0                                            // 000000009DB0: BF108080
	s_setvskip s20, 8                                          // 000000009DB4: BF108814
	global_atomic_pk_add_bf16 v112, v81, s[8:9] offset:256     // 000000009DB8: DD488100 00085170
	s_setvskip 0, 0                                            // 000000009DC0: BF108080
	s_setvskip s20, 9                                          // 000000009DC4: BF108914
	global_atomic_pk_add_bf16 v114, v82, s[8:9]                // 000000009DC8: DD488000 00085272
	s_setvskip 0, 0                                            // 000000009DD0: BF108080
	s_setvskip s20, 9                                          // 000000009DD4: BF108914
	global_atomic_pk_add_bf16 v114, v83, s[8:9] offset:256     // 000000009DD8: DD488100 00085372
	s_setvskip 0, 0                                            // 000000009DE0: BF108080
	s_setvskip s20, 10                                         // 000000009DE4: BF108A14
	global_atomic_pk_add_bf16 v116, v84, s[8:9]                // 000000009DE8: DD488000 00085474
	s_setvskip 0, 0                                            // 000000009DF0: BF108080
	s_setvskip s20, 10                                         // 000000009DF4: BF108A14
	global_atomic_pk_add_bf16 v116, v85, s[8:9] offset:256     // 000000009DF8: DD488100 00085574
	s_setvskip 0, 0                                            // 000000009E00: BF108080
	s_setvskip s20, 11                                         // 000000009E04: BF108B14
	global_atomic_pk_add_bf16 v118, v86, s[8:9]                // 000000009E08: DD488000 00085676
	s_setvskip 0, 0                                            // 000000009E10: BF108080
	s_setvskip s20, 11                                         // 000000009E14: BF108B14
	global_atomic_pk_add_bf16 v118, v87, s[8:9] offset:256     // 000000009E18: DD488100 00085776
	s_setvskip 0, 0                                            // 000000009E20: BF108080
	s_setvskip s20, 12                                         // 000000009E24: BF108C14
	global_atomic_pk_add_bf16 v120, v88, s[8:9]                // 000000009E28: DD488000 00085878
	s_setvskip 0, 0                                            // 000000009E30: BF108080
	s_setvskip s20, 12                                         // 000000009E34: BF108C14
	global_atomic_pk_add_bf16 v120, v89, s[8:9] offset:256     // 000000009E38: DD488100 00085978
	s_setvskip 0, 0                                            // 000000009E40: BF108080
	s_setvskip s20, 13                                         // 000000009E44: BF108D14
	global_atomic_pk_add_bf16 v122, v90, s[8:9]                // 000000009E48: DD488000 00085A7A
	s_setvskip 0, 0                                            // 000000009E50: BF108080
	s_setvskip s20, 13                                         // 000000009E54: BF108D14
	global_atomic_pk_add_bf16 v122, v91, s[8:9] offset:256     // 000000009E58: DD488100 00085B7A
	s_setvskip 0, 0                                            // 000000009E60: BF108080
	s_setvskip s20, 14                                         // 000000009E64: BF108E14
	global_atomic_pk_add_bf16 v124, v92, s[8:9]                // 000000009E68: DD488000 00085C7C
	s_setvskip 0, 0                                            // 000000009E70: BF108080
	s_setvskip s20, 14                                         // 000000009E74: BF108E14
	global_atomic_pk_add_bf16 v124, v93, s[8:9] offset:256     // 000000009E78: DD488100 00085D7C
	s_setvskip 0, 0                                            // 000000009E80: BF108080
	s_setvskip s20, 15                                         // 000000009E84: BF108F14
	global_atomic_pk_add_bf16 v126, v94, s[8:9]                // 000000009E88: DD488000 00085E7E
	s_setvskip 0, 0                                            // 000000009E90: BF108080
	s_setvskip s20, 15                                         // 000000009E94: BF108F14
	global_atomic_pk_add_bf16 v126, v95, s[8:9] offset:256     // 000000009E98: DD488100 00085F7E
	s_setvskip 0, 0                                            // 000000009EA0: BF108080
	s_add_u32 s8, s55, s8                                      // 000000009EA4: 80080837
	s_addc_u32 s9, 0, s9                                       // 000000009EA8: 82090980
	s_addk_i32 s76, 0x100                                      // 000000009EAC: B74C0100
	s_cmp_lt_i32 s76, s77                                      // 000000009EB0: BF044D4C
	s_cbranch_scc0 label_1C2F                                  // 000000009EB4: BF840001
	s_branch label_11F8                                        // 000000009EB8: BF82F5C9

0000000000009ebc <label_1C2F>:
	s_nop 0                                                    // 000000009EBC: BF800000
	s_nop 0                                                    // 000000009EC0: BF800000
	s_branch label_347F                                        // 000000009EC4: BF82184D

0000000000009ec8 <label_1C32>:
	s_waitcnt vmcnt(8) lgkmcnt(0)                              // 000000009EC8: BF8C0078
	s_barrier                                                  // 000000009ECC: BF8A0000
	v_mfma_f32_16x16x32_fp8_fp8 v[192:195], a[0:1], a[128:129], 0// 000000009ED0: D3F300C0 1A030100
	buffer_load_dwordx4 a[64:67], v47, s[96:99], 0 offen       // 000000009ED8: E05C1000 8098402F
	v_mfma_f32_16x16x32_fp8_fp8 v[192:195], a[2:3], a[130:131], v[192:195]// 000000009EE0: D3F300C0 1F030502
	v_mfma_f32_16x16x32_fp8_fp8 v[192:195], a[4:5], a[132:133], v[192:195]// 000000009EE8: D3F300C0 1F030904
	buffer_load_dword v43, s[20:23], 0 offen lds               // 000000009EF0: E0511000 8005002B
	s_mul_i32 s56, s80, s64                                    // 000000009EF8: 92384050
	v_lshl_add_u32 v45, v0, 2, s56                             // 000000009EFC: D1FD002D 00E10500
	s_add_u32 m0, 0x100, s49                                   // 000000009F04: 807C31FF 00000100
	v_mfma_f32_16x16x32_fp8_fp8 v[192:195], a[6:7], a[134:135], v[192:195]// 000000009F0C: D3F300C0 1F030D06
	v_mfma_f32_16x16x32_fp8_fp8 v[196:199], a[0:1], a[144:145], 0// 000000009F14: D3F300C4 1A032100
	v_mfma_f32_16x16x32_fp8_fp8 v[196:199], a[2:3], a[146:147], v[196:199]// 000000009F1C: D3F300C4 1F132502
	v_mfma_f32_16x16x32_fp8_fp8 v[196:199], a[4:5], a[148:149], v[196:199]// 000000009F24: D3F300C4 1F132904
	buffer_load_dword v44, s[20:23], 0 offen lds               // 000000009F2C: E0511000 8005002C
	s_mul_i32 s56, s81, s64                                    // 000000009F34: 92384051
	v_lshl_add_u32 v46, v0, 2, s56                             // 000000009F38: D1FD002E 00E10500
	s_add_u32 m0, 0x200, s49                                   // 000000009F40: 807C31FF 00000200
	v_mfma_f32_16x16x32_fp8_fp8 v[196:199], a[6:7], a[150:151], v[196:199]// 000000009F48: D3F300C4 1F132D06
	v_mfma_f32_16x16x32_fp8_fp8 v[200:203], a[0:1], a[160:161], 0// 000000009F50: D3F300C8 1A034100
	buffer_load_dwordx4 a[68:71], v47, s[96:99], 0 offen offset:1024// 000000009F58: E05C1400 8098442F
	v_mfma_f32_16x16x32_fp8_fp8 v[200:203], a[2:3], a[162:163], v[200:203]// 000000009F60: D3F300C8 1F234502
	v_mfma_f32_16x16x32_fp8_fp8 v[200:203], a[4:5], a[164:165], v[200:203]// 000000009F68: D3F300C8 1F234904
	buffer_load_dword v45, s[20:23], 0 offen lds               // 000000009F70: E0511000 8005002D
	s_mul_i32 s56, s82, s64                                    // 000000009F78: 92384052
	v_lshl_add_u32 v43, v0, 2, s56                             // 000000009F7C: D1FD002B 00E10500
	s_add_u32 m0, 0x300, s49                                   // 000000009F84: 807C31FF 00000300
	v_mfma_f32_16x16x32_fp8_fp8 v[200:203], a[6:7], a[166:167], v[200:203]// 000000009F8C: D3F300C8 1F234D06
	v_mfma_f32_16x16x32_fp8_fp8 v[204:207], a[0:1], a[176:177], 0// 000000009F94: D3F300CC 1A036100
	v_mfma_f32_16x16x32_fp8_fp8 v[204:207], a[2:3], a[178:179], v[204:207]// 000000009F9C: D3F300CC 1F336502
	v_mfma_f32_16x16x32_fp8_fp8 v[204:207], a[4:5], a[180:181], v[204:207]// 000000009FA4: D3F300CC 1F336904
	buffer_load_dword v46, s[20:23], 0 offen lds               // 000000009FAC: E0511000 8005002E
	s_mul_i32 s56, s83, s64                                    // 000000009FB4: 92384053
	v_lshl_add_u32 v44, v0, 2, s56                             // 000000009FB8: D1FD002C 00E10500
	s_add_u32 m0, 0x400, s49                                   // 000000009FC0: 807C31FF 00000400
	v_mfma_f32_16x16x32_fp8_fp8 v[204:207], a[6:7], a[182:183], v[204:207]// 000000009FC8: D3F300CC 1F336D06
	v_mfma_f32_16x16x32_fp8_fp8 v[208:211], a[16:17], a[128:129], 0// 000000009FD0: D3F300D0 1A030110
	buffer_load_dwordx4 a[80:83], v48, s[96:99], 0 offen       // 000000009FD8: E05C1000 80985030
	v_mfma_f32_16x16x32_fp8_fp8 v[208:211], a[18:19], a[130:131], v[208:211]// 000000009FE0: D3F300D0 1F430512
	v_mfma_f32_16x16x32_fp8_fp8 v[208:211], a[20:21], a[132:133], v[208:211]// 000000009FE8: D3F300D0 1F430914
	buffer_load_dword v43, s[20:23], 0 offen lds               // 000000009FF0: E0511000 8005002B
	s_mul_i32 s56, s84, s64                                    // 000000009FF8: 92384054
	v_lshl_add_u32 v45, v0, 2, s56                             // 000000009FFC: D1FD002D 00E10500
	s_add_u32 m0, 0x500, s49                                   // 00000000A004: 807C31FF 00000500
	v_mfma_f32_16x16x32_fp8_fp8 v[208:211], a[22:23], a[134:135], v[208:211]// 00000000A00C: D3F300D0 1F430D16
	v_mfma_f32_16x16x32_fp8_fp8 v[212:215], a[16:17], a[144:145], 0// 00000000A014: D3F300D4 1A032110
	v_mfma_f32_16x16x32_fp8_fp8 v[212:215], a[18:19], a[146:147], v[212:215]// 00000000A01C: D3F300D4 1F532512
	v_mfma_f32_16x16x32_fp8_fp8 v[212:215], a[20:21], a[148:149], v[212:215]// 00000000A024: D3F300D4 1F532914
	buffer_load_dword v44, s[20:23], 0 offen lds               // 00000000A02C: E0511000 8005002C
	s_mul_i32 s56, s85, s64                                    // 00000000A034: 92384055
	v_lshl_add_u32 v46, v0, 2, s56                             // 00000000A038: D1FD002E 00E10500
	s_add_u32 m0, 0x600, s49                                   // 00000000A040: 807C31FF 00000600
	v_mfma_f32_16x16x32_fp8_fp8 v[212:215], a[22:23], a[150:151], v[212:215]// 00000000A048: D3F300D4 1F532D16
	v_mfma_f32_16x16x32_fp8_fp8 v[216:219], a[16:17], a[160:161], 0// 00000000A050: D3F300D8 1A034110
	buffer_load_dwordx4 a[84:87], v48, s[96:99], 0 offen offset:1024// 00000000A058: E05C1400 80985430
	v_mfma_f32_16x16x32_fp8_fp8 v[216:219], a[18:19], a[162:163], v[216:219]// 00000000A060: D3F300D8 1F634512
	v_mfma_f32_16x16x32_fp8_fp8 v[216:219], a[20:21], a[164:165], v[216:219]// 00000000A068: D3F300D8 1F634914
	buffer_load_dword v45, s[20:23], 0 offen lds               // 00000000A070: E0511000 8005002D
	s_mul_i32 s56, s86, s64                                    // 00000000A078: 92384056
	v_lshl_add_u32 v43, v0, 2, s56                             // 00000000A07C: D1FD002B 00E10500
	s_add_u32 m0, 0x700, s49                                   // 00000000A084: 807C31FF 00000700
	v_mfma_f32_16x16x32_fp8_fp8 v[216:219], a[22:23], a[166:167], v[216:219]// 00000000A08C: D3F300D8 1F634D16
	v_mfma_f32_16x16x32_fp8_fp8 v[220:223], a[16:17], a[176:177], 0// 00000000A094: D3F300DC 1A036110
	v_mfma_f32_16x16x32_fp8_fp8 v[220:223], a[18:19], a[178:179], v[220:223]// 00000000A09C: D3F300DC 1F736512
	v_mfma_f32_16x16x32_fp8_fp8 v[220:223], a[20:21], a[180:181], v[220:223]// 00000000A0A4: D3F300DC 1F736914
	buffer_load_dword v46, s[20:23], 0 offen lds               // 00000000A0AC: E0511000 8005002E
	s_mul_i32 s56, s87, s64                                    // 00000000A0B4: 92384057
	v_lshl_add_u32 v44, v0, 2, s56                             // 00000000A0B8: D1FD002C 00E10500
	s_add_u32 m0, 0x800, s49                                   // 00000000A0C0: 807C31FF 00000800
	v_mfma_f32_16x16x32_fp8_fp8 v[220:223], a[22:23], a[182:183], v[220:223]// 00000000A0C8: D3F300DC 1F736D16
	s_waitcnt vmcnt(31)                                        // 00000000A0D0: BF8C4F7F
	v_mfma_f32_16x16x32_fp8_fp8 v[224:227], a[32:33], a[128:129], 0// 00000000A0D4: D3F300E0 1A030120
	buffer_load_dwordx4 a[96:99], v49, s[96:99], 0 offen       // 00000000A0DC: E05C1000 80986031
	v_mfma_f32_16x16x32_fp8_fp8 v[224:227], a[34:35], a[130:131], v[224:227]// 00000000A0E4: D3F300E0 1F830522
	v_mfma_f32_16x16x32_fp8_fp8 v[224:227], a[36:37], a[132:133], v[224:227]// 00000000A0EC: D3F300E0 1F830924
	buffer_load_dword v43, s[20:23], 0 offen lds               // 00000000A0F4: E0511000 8005002B
	s_mul_i32 s56, s88, s64                                    // 00000000A0FC: 92384058
	v_lshl_add_u32 v45, v0, 2, s56                             // 00000000A100: D1FD002D 00E10500
	s_add_u32 m0, 0x900, s49                                   // 00000000A108: 807C31FF 00000900
	v_mfma_f32_16x16x32_fp8_fp8 v[224:227], a[38:39], a[134:135], v[224:227]// 00000000A110: D3F300E0 1F830D26
	v_mfma_f32_16x16x32_fp8_fp8 v[228:231], a[32:33], a[144:145], 0// 00000000A118: D3F300E4 1A032120
	v_mfma_f32_16x16x32_fp8_fp8 v[228:231], a[34:35], a[146:147], v[228:231]// 00000000A120: D3F300E4 1F932522
	v_mfma_f32_16x16x32_fp8_fp8 v[228:231], a[36:37], a[148:149], v[228:231]// 00000000A128: D3F300E4 1F932924
	buffer_load_dword v44, s[20:23], 0 offen lds               // 00000000A130: E0511000 8005002C
	s_mul_i32 s56, s89, s64                                    // 00000000A138: 92384059
	v_lshl_add_u32 v46, v0, 2, s56                             // 00000000A13C: D1FD002E 00E10500
	s_add_u32 m0, 0xa00, s49                                   // 00000000A144: 807C31FF 00000A00
	v_mfma_f32_16x16x32_fp8_fp8 v[228:231], a[38:39], a[150:151], v[228:231]// 00000000A14C: D3F300E4 1F932D26
	v_mfma_f32_16x16x32_fp8_fp8 v[232:235], a[32:33], a[160:161], 0// 00000000A154: D3F300E8 1A034120
	buffer_load_dwordx4 a[100:103], v49, s[96:99], 0 offen offset:1024// 00000000A15C: E05C1400 80986431
	v_mfma_f32_16x16x32_fp8_fp8 v[232:235], a[34:35], a[162:163], v[232:235]// 00000000A164: D3F300E8 1FA34522
	v_mfma_f32_16x16x32_fp8_fp8 v[232:235], a[36:37], a[164:165], v[232:235]// 00000000A16C: D3F300E8 1FA34924
	buffer_load_dword v45, s[20:23], 0 offen lds               // 00000000A174: E0511000 8005002D
	s_mul_i32 s56, s90, s64                                    // 00000000A17C: 9238405A
	v_lshl_add_u32 v43, v0, 2, s56                             // 00000000A180: D1FD002B 00E10500
	s_add_u32 m0, 0xb00, s49                                   // 00000000A188: 807C31FF 00000B00
	v_mfma_f32_16x16x32_fp8_fp8 v[232:235], a[38:39], a[166:167], v[232:235]// 00000000A190: D3F300E8 1FA34D26
	v_mfma_f32_16x16x32_fp8_fp8 v[236:239], a[32:33], a[176:177], 0// 00000000A198: D3F300EC 1A036120
	v_mfma_f32_16x16x32_fp8_fp8 v[236:239], a[34:35], a[178:179], v[236:239]// 00000000A1A0: D3F300EC 1FB36522
	v_mfma_f32_16x16x32_fp8_fp8 v[236:239], a[36:37], a[180:181], v[236:239]// 00000000A1A8: D3F300EC 1FB36924
	buffer_load_dword v46, s[20:23], 0 offen lds               // 00000000A1B0: E0511000 8005002E
	s_mul_i32 s56, s91, s64                                    // 00000000A1B8: 9238405B
	v_lshl_add_u32 v44, v0, 2, s56                             // 00000000A1BC: D1FD002C 00E10500
	s_add_u32 m0, 0xc00, s49                                   // 00000000A1C4: 807C31FF 00000C00
	v_mfma_f32_16x16x32_fp8_fp8 v[236:239], a[38:39], a[182:183], v[236:239]// 00000000A1CC: D3F300EC 1FB36D26
	s_waitcnt vmcnt(31)                                        // 00000000A1D4: BF8C4F7F
	v_mfma_f32_16x16x32_fp8_fp8 v[240:243], a[48:49], a[128:129], 0// 00000000A1D8: D3F300F0 1A030130
	buffer_load_dwordx4 a[112:115], v50, s[96:99], 0 offen     // 00000000A1E0: E05C1000 80987032
	v_mfma_f32_16x16x32_fp8_fp8 v[240:243], a[50:51], a[130:131], v[240:243]// 00000000A1E8: D3F300F0 1FC30532
	v_mfma_f32_16x16x32_fp8_fp8 v[240:243], a[52:53], a[132:133], v[240:243]// 00000000A1F0: D3F300F0 1FC30934
	buffer_load_dword v43, s[20:23], 0 offen lds               // 00000000A1F8: E0511000 8005002B
	s_mul_i32 s56, s92, s64                                    // 00000000A200: 9238405C
	v_lshl_add_u32 v45, v0, 2, s56                             // 00000000A204: D1FD002D 00E10500
	s_add_u32 m0, 0xd00, s49                                   // 00000000A20C: 807C31FF 00000D00
	v_mfma_f32_16x16x32_fp8_fp8 v[240:243], a[54:55], a[134:135], v[240:243]// 00000000A214: D3F300F0 1FC30D36
	v_mfma_f32_16x16x32_fp8_fp8 v[244:247], a[48:49], a[144:145], 0// 00000000A21C: D3F300F4 1A032130
	v_mfma_f32_16x16x32_fp8_fp8 v[244:247], a[50:51], a[146:147], v[244:247]// 00000000A224: D3F300F4 1FD32532
	v_mfma_f32_16x16x32_fp8_fp8 v[244:247], a[52:53], a[148:149], v[244:247]// 00000000A22C: D3F300F4 1FD32934
	buffer_load_dword v44, s[20:23], 0 offen lds               // 00000000A234: E0511000 8005002C
	s_mul_i32 s56, s93, s64                                    // 00000000A23C: 9238405D
	v_lshl_add_u32 v46, v0, 2, s56                             // 00000000A240: D1FD002E 00E10500
	s_add_u32 m0, 0xe00, s49                                   // 00000000A248: 807C31FF 00000E00
	v_mfma_f32_16x16x32_fp8_fp8 v[244:247], a[54:55], a[150:151], v[244:247]// 00000000A250: D3F300F4 1FD32D36
	v_mfma_f32_16x16x32_fp8_fp8 v[248:251], a[48:49], a[160:161], 0// 00000000A258: D3F300F8 1A034130
	buffer_load_dwordx4 a[116:119], v50, s[96:99], 0 offen offset:1024// 00000000A260: E05C1400 80987432
	v_mfma_f32_16x16x32_fp8_fp8 v[248:251], a[50:51], a[162:163], v[248:251]// 00000000A268: D3F300F8 1FE34532
	v_mfma_f32_16x16x32_fp8_fp8 v[248:251], a[52:53], a[164:165], v[248:251]// 00000000A270: D3F300F8 1FE34934
	buffer_load_dword v45, s[20:23], 0 offen lds               // 00000000A278: E0511000 8005002D
	s_mul_i32 s56, s78, s64                                    // 00000000A280: 9238404E
	v_lshl_add_u32 v43, v0, 2, s56                             // 00000000A284: D1FD002B 00E10500
	s_add_u32 m0, 0xf00, s49                                   // 00000000A28C: 807C31FF 00000F00
	v_mfma_f32_16x16x32_fp8_fp8 v[248:251], a[54:55], a[166:167], v[248:251]// 00000000A294: D3F300F8 1FE34D36
	v_mfma_f32_16x16x32_fp8_fp8 v[252:255], a[48:49], a[176:177], 0// 00000000A29C: D3F300FC 1A036130
	v_mfma_f32_16x16x32_fp8_fp8 v[252:255], a[50:51], a[178:179], v[252:255]// 00000000A2A4: D3F300FC 1FF36532
	v_mfma_f32_16x16x32_fp8_fp8 v[252:255], a[52:53], a[180:181], v[252:255]// 00000000A2AC: D3F300FC 1FF36934
	buffer_load_dword v46, s[20:23], 0 offen lds               // 00000000A2B4: E0511000 8005002E
	s_mul_i32 s56, s79, s64                                    // 00000000A2BC: 9238404F
	v_lshl_add_u32 v44, v0, 2, s56                             // 00000000A2C0: D1FD002C 00E10500
	s_add_u32 m0, s49, s72                                     // 00000000A2C8: 807C4831
	buffer_load_dword v9, s[28:31], 0 offen lds                // 00000000A2CC: E0511000 80070009
	s_add_u32 m0, m0, 0x400                                    // 00000000A2D4: 807CFF7C 00000400
	buffer_load_dword v11, s[28:31], 0 offen lds               // 00000000A2DC: E0511000 8007000B
	s_add_u32 m0, 0, s48                                       // 00000000A2E4: 807C3080
	buffer_load_dword v38, v19, s[32:35], 0 offen              // 00000000A2E8: E0501000 80082613
	v_mfma_f32_16x16x32_fp8_fp8 v[252:255], a[54:55], a[182:183], v[252:255]// 00000000A2F0: D3F300FC 1FF36D36
	v_mul_f32_dpp v60, v37, v21 row_newbcast:0 row_mask:0xf bank_mask:0xf// 00000000A2F8: 0A782AFA FF015025
	v_mov_b32_e32 v61, v60                                     // 00000000A300: 7E7A033C
	v_pk_fma_f32 v[64:65], v[192:193], v[60:61], v[64:65]      // 00000000A304: D3B04040 1D0279C0
	v_pk_fma_f32 v[66:67], v[194:195], v[60:61], v[66:67]      // 00000000A30C: D3B04042 1D0A79C2
	v_pk_fma_f32 v[80:81], v[208:209], v[60:61], v[80:81]      // 00000000A314: D3B04050 1D4279D0
	v_pk_fma_f32 v[82:83], v[210:211], v[60:61], v[82:83]      // 00000000A31C: D3B04052 1D4A79D2
	v_mul_f32_dpp v60, v37, v21 row_newbcast:1 row_mask:0xf bank_mask:0xf// 00000000A324: 0A782AFA FF015125
	v_mov_b32_e32 v61, v60                                     // 00000000A32C: 7E7A033C
	v_pk_fma_f32 v[96:97], v[224:225], v[60:61], v[96:97]      // 00000000A330: D3B04060 1D8279E0
	v_pk_fma_f32 v[98:99], v[226:227], v[60:61], v[98:99]      // 00000000A338: D3B04062 1D8A79E2
	v_pk_fma_f32 v[112:113], v[240:241], v[60:61], v[112:113]  // 00000000A340: D3B04070 1DC279F0
	v_pk_fma_f32 v[114:115], v[242:243], v[60:61], v[114:115]  // 00000000A348: D3B04072 1DCA79F2
	v_mul_f32_dpp v60, v37, v22 row_newbcast:0 row_mask:0xf bank_mask:0xf// 00000000A350: 0A782CFA FF015025
	v_mov_b32_e32 v61, v60                                     // 00000000A358: 7E7A033C
	v_pk_fma_f32 v[68:69], v[196:197], v[60:61], v[68:69]      // 00000000A35C: D3B04044 1D1279C4
	v_pk_fma_f32 v[70:71], v[198:199], v[60:61], v[70:71]      // 00000000A364: D3B04046 1D1A79C6
	v_pk_fma_f32 v[84:85], v[212:213], v[60:61], v[84:85]      // 00000000A36C: D3B04054 1D5279D4
	v_pk_fma_f32 v[86:87], v[214:215], v[60:61], v[86:87]      // 00000000A374: D3B04056 1D5A79D6
	v_mul_f32_dpp v60, v37, v22 row_newbcast:1 row_mask:0xf bank_mask:0xf// 00000000A37C: 0A782CFA FF015125
	v_mov_b32_e32 v61, v60                                     // 00000000A384: 7E7A033C
	v_pk_fma_f32 v[100:101], v[228:229], v[60:61], v[100:101]  // 00000000A388: D3B04064 1D9279E4
	v_pk_fma_f32 v[102:103], v[230:231], v[60:61], v[102:103]  // 00000000A390: D3B04066 1D9A79E6
	v_pk_fma_f32 v[116:117], v[244:245], v[60:61], v[116:117]  // 00000000A398: D3B04074 1DD279F4
	v_pk_fma_f32 v[118:119], v[246:247], v[60:61], v[118:119]  // 00000000A3A0: D3B04076 1DDA79F6
	v_mul_f32_dpp v60, v37, v23 row_newbcast:0 row_mask:0xf bank_mask:0xf// 00000000A3A8: 0A782EFA FF015025
	v_mov_b32_e32 v61, v60                                     // 00000000A3B0: 7E7A033C
	v_pk_fma_f32 v[72:73], v[200:201], v[60:61], v[72:73]      // 00000000A3B4: D3B04048 1D2279C8
	v_pk_fma_f32 v[74:75], v[202:203], v[60:61], v[74:75]      // 00000000A3BC: D3B0404A 1D2A79CA
	v_pk_fma_f32 v[88:89], v[216:217], v[60:61], v[88:89]      // 00000000A3C4: D3B04058 1D6279D8
	v_pk_fma_f32 v[90:91], v[218:219], v[60:61], v[90:91]      // 00000000A3CC: D3B0405A 1D6A79DA
	v_mul_f32_dpp v60, v37, v23 row_newbcast:1 row_mask:0xf bank_mask:0xf// 00000000A3D4: 0A782EFA FF015125
	v_mov_b32_e32 v61, v60                                     // 00000000A3DC: 7E7A033C
	v_pk_fma_f32 v[104:105], v[232:233], v[60:61], v[104:105]  // 00000000A3E0: D3B04068 1DA279E8
	v_pk_fma_f32 v[106:107], v[234:235], v[60:61], v[106:107]  // 00000000A3E8: D3B0406A 1DAA79EA
	v_pk_fma_f32 v[120:121], v[248:249], v[60:61], v[120:121]  // 00000000A3F0: D3B04078 1DE279F8
	v_pk_fma_f32 v[122:123], v[250:251], v[60:61], v[122:123]  // 00000000A3F8: D3B0407A 1DEA79FA
	v_mul_f32_dpp v60, v37, v24 row_newbcast:0 row_mask:0xf bank_mask:0xf// 00000000A400: 0A7830FA FF015025
	v_mov_b32_e32 v61, v60                                     // 00000000A408: 7E7A033C
	v_pk_fma_f32 v[76:77], v[204:205], v[60:61], v[76:77]      // 00000000A40C: D3B0404C 1D3279CC
	v_pk_fma_f32 v[78:79], v[206:207], v[60:61], v[78:79]      // 00000000A414: D3B0404E 1D3A79CE
	v_pk_fma_f32 v[92:93], v[220:221], v[60:61], v[92:93]      // 00000000A41C: D3B0405C 1D7279DC
	v_pk_fma_f32 v[94:95], v[222:223], v[60:61], v[94:95]      // 00000000A424: D3B0405E 1D7A79DE
	v_mul_f32_dpp v60, v37, v24 row_newbcast:1 row_mask:0xf bank_mask:0xf// 00000000A42C: 0A7830FA FF015125
	v_mov_b32_e32 v61, v60                                     // 00000000A434: 7E7A033C
	v_pk_fma_f32 v[108:109], v[236:237], v[60:61], v[108:109]  // 00000000A438: D3B0406C 1DB279EC
	v_pk_fma_f32 v[110:111], v[238:239], v[60:61], v[110:111]  // 00000000A440: D3B0406E 1DBA79EE
	v_pk_fma_f32 v[124:125], v[252:253], v[60:61], v[124:125]  // 00000000A448: D3B0407C 1DF279FC
	v_pk_fma_f32 v[126:127], v[254:255], v[60:61], v[126:127]  // 00000000A450: D3B0407E 1DFA79FE
	s_waitcnt vmcnt(31)                                        // 00000000A458: BF8C4F7F
	v_mfma_f32_16x16x32_fp8_fp8 v[192:195], a[8:9], a[136:137], 0// 00000000A45C: D3F300C0 1A031108
	buffer_load_dwordx4 a[72:75], v47, s[96:99], 0 offen offset:2048// 00000000A464: E05C1800 8098482F
	v_mfma_f32_16x16x32_fp8_fp8 v[192:195], a[10:11], a[138:139], v[192:195]// 00000000A46C: D3F300C0 1F03150A
	v_mfma_f32_16x16x32_fp8_fp8 v[192:195], a[12:13], a[140:141], v[192:195]// 00000000A474: D3F300C0 1F03190C
	v_mfma_f32_16x16x32_fp8_fp8 v[192:195], a[14:15], a[142:143], v[192:195]// 00000000A47C: D3F300C0 1F031D0E
	v_mfma_f32_16x16x32_fp8_fp8 v[196:199], a[8:9], a[152:153], 0// 00000000A484: D3F300C4 1A033108
	v_mfma_f32_16x16x32_fp8_fp8 v[196:199], a[10:11], a[154:155], v[196:199]// 00000000A48C: D3F300C4 1F13350A
	v_mfma_f32_16x16x32_fp8_fp8 v[196:199], a[12:13], a[156:157], v[196:199]// 00000000A494: D3F300C4 1F13390C
	v_mfma_f32_16x16x32_fp8_fp8 v[196:199], a[14:15], a[158:159], v[196:199]// 00000000A49C: D3F300C4 1F133D0E
	v_mfma_f32_16x16x32_fp8_fp8 v[200:203], a[8:9], a[168:169], 0// 00000000A4A4: D3F300C8 1A035108
	buffer_load_dwordx4 a[76:79], v47, s[96:99], 0 offen offset:3072// 00000000A4AC: E05C1C00 80984C2F
	v_mfma_f32_16x16x32_fp8_fp8 v[200:203], a[10:11], a[170:171], v[200:203]// 00000000A4B4: D3F300C8 1F23550A
	v_mfma_f32_16x16x32_fp8_fp8 v[200:203], a[12:13], a[172:173], v[200:203]// 00000000A4BC: D3F300C8 1F23590C
	v_mfma_f32_16x16x32_fp8_fp8 v[200:203], a[14:15], a[174:175], v[200:203]// 00000000A4C4: D3F300C8 1F235D0E
	v_mfma_f32_16x16x32_fp8_fp8 v[204:207], a[8:9], a[184:185], 0// 00000000A4CC: D3F300CC 1A037108
	v_mfma_f32_16x16x32_fp8_fp8 v[204:207], a[10:11], a[186:187], v[204:207]// 00000000A4D4: D3F300CC 1F33750A
	v_mfma_f32_16x16x32_fp8_fp8 v[204:207], a[12:13], a[188:189], v[204:207]// 00000000A4DC: D3F300CC 1F33790C
	v_mfma_f32_16x16x32_fp8_fp8 v[204:207], a[14:15], a[190:191], v[204:207]// 00000000A4E4: D3F300CC 1F337D0E
	s_waitcnt vmcnt(31)                                        // 00000000A4EC: BF8C4F7F
	v_mfma_f32_16x16x32_fp8_fp8 v[208:211], a[24:25], a[136:137], 0// 00000000A4F0: D3F300D0 1A031118
	buffer_load_dwordx4 a[88:91], v48, s[96:99], 0 offen offset:2048// 00000000A4F8: E05C1800 80985830
	v_mfma_f32_16x16x32_fp8_fp8 v[208:211], a[26:27], a[138:139], v[208:211]// 00000000A500: D3F300D0 1F43151A
	v_mfma_f32_16x16x32_fp8_fp8 v[208:211], a[28:29], a[140:141], v[208:211]// 00000000A508: D3F300D0 1F43191C
	v_mfma_f32_16x16x32_fp8_fp8 v[208:211], a[30:31], a[142:143], v[208:211]// 00000000A510: D3F300D0 1F431D1E
	v_mfma_f32_16x16x32_fp8_fp8 v[212:215], a[24:25], a[152:153], 0// 00000000A518: D3F300D4 1A033118
	v_mfma_f32_16x16x32_fp8_fp8 v[212:215], a[26:27], a[154:155], v[212:215]// 00000000A520: D3F300D4 1F53351A
	v_mfma_f32_16x16x32_fp8_fp8 v[212:215], a[28:29], a[156:157], v[212:215]// 00000000A528: D3F300D4 1F53391C
	v_mfma_f32_16x16x32_fp8_fp8 v[212:215], a[30:31], a[158:159], v[212:215]// 00000000A530: D3F300D4 1F533D1E
	v_mfma_f32_16x16x32_fp8_fp8 v[216:219], a[24:25], a[168:169], 0// 00000000A538: D3F300D8 1A035118
	buffer_load_dwordx4 a[92:95], v48, s[96:99], 0 offen offset:3072// 00000000A540: E05C1C00 80985C30
	v_mfma_f32_16x16x32_fp8_fp8 v[216:219], a[26:27], a[170:171], v[216:219]// 00000000A548: D3F300D8 1F63551A
	v_mfma_f32_16x16x32_fp8_fp8 v[216:219], a[28:29], a[172:173], v[216:219]// 00000000A550: D3F300D8 1F63591C
	v_mfma_f32_16x16x32_fp8_fp8 v[216:219], a[30:31], a[174:175], v[216:219]// 00000000A558: D3F300D8 1F635D1E
	v_mfma_f32_16x16x32_fp8_fp8 v[220:223], a[24:25], a[184:185], 0// 00000000A560: D3F300DC 1A037118
	v_mfma_f32_16x16x32_fp8_fp8 v[220:223], a[26:27], a[186:187], v[220:223]// 00000000A568: D3F300DC 1F73751A
	v_mfma_f32_16x16x32_fp8_fp8 v[220:223], a[28:29], a[188:189], v[220:223]// 00000000A570: D3F300DC 1F73791C
	v_mfma_f32_16x16x32_fp8_fp8 v[220:223], a[30:31], a[190:191], v[220:223]// 00000000A578: D3F300DC 1F737D1E
	s_waitcnt vmcnt(31)                                        // 00000000A580: BF8C4F7F
	v_mfma_f32_16x16x32_fp8_fp8 v[224:227], a[40:41], a[136:137], 0// 00000000A584: D3F300E0 1A031128
	buffer_load_dwordx4 a[104:107], v49, s[96:99], 0 offen offset:2048// 00000000A58C: E05C1800 80986831
	v_mfma_f32_16x16x32_fp8_fp8 v[224:227], a[42:43], a[138:139], v[224:227]// 00000000A594: D3F300E0 1F83152A
	v_mfma_f32_16x16x32_fp8_fp8 v[224:227], a[44:45], a[140:141], v[224:227]// 00000000A59C: D3F300E0 1F83192C
	v_mfma_f32_16x16x32_fp8_fp8 v[224:227], a[46:47], a[142:143], v[224:227]// 00000000A5A4: D3F300E0 1F831D2E
	v_mfma_f32_16x16x32_fp8_fp8 v[228:231], a[40:41], a[152:153], 0// 00000000A5AC: D3F300E4 1A033128
	v_mfma_f32_16x16x32_fp8_fp8 v[228:231], a[42:43], a[154:155], v[228:231]// 00000000A5B4: D3F300E4 1F93352A
	v_mfma_f32_16x16x32_fp8_fp8 v[228:231], a[44:45], a[156:157], v[228:231]// 00000000A5BC: D3F300E4 1F93392C
	v_mfma_f32_16x16x32_fp8_fp8 v[228:231], a[46:47], a[158:159], v[228:231]// 00000000A5C4: D3F300E4 1F933D2E
	v_mfma_f32_16x16x32_fp8_fp8 v[232:235], a[40:41], a[168:169], 0// 00000000A5CC: D3F300E8 1A035128
	buffer_load_dwordx4 a[108:111], v49, s[96:99], 0 offen offset:3072// 00000000A5D4: E05C1C00 80986C31
	v_mfma_f32_16x16x32_fp8_fp8 v[232:235], a[42:43], a[170:171], v[232:235]// 00000000A5DC: D3F300E8 1FA3552A
	v_mfma_f32_16x16x32_fp8_fp8 v[232:235], a[44:45], a[172:173], v[232:235]// 00000000A5E4: D3F300E8 1FA3592C
	v_mfma_f32_16x16x32_fp8_fp8 v[232:235], a[46:47], a[174:175], v[232:235]// 00000000A5EC: D3F300E8 1FA35D2E
	v_mfma_f32_16x16x32_fp8_fp8 v[236:239], a[40:41], a[184:185], 0// 00000000A5F4: D3F300EC 1A037128
	v_mfma_f32_16x16x32_fp8_fp8 v[236:239], a[42:43], a[186:187], v[236:239]// 00000000A5FC: D3F300EC 1FB3752A
	v_mfma_f32_16x16x32_fp8_fp8 v[236:239], a[44:45], a[188:189], v[236:239]// 00000000A604: D3F300EC 1FB3792C
	v_mfma_f32_16x16x32_fp8_fp8 v[236:239], a[46:47], a[190:191], v[236:239]// 00000000A60C: D3F300EC 1FB37D2E
	s_waitcnt vmcnt(31)                                        // 00000000A614: BF8C4F7F
	v_mfma_f32_16x16x32_fp8_fp8 v[240:243], a[56:57], a[136:137], 0// 00000000A618: D3F300F0 1A031138
	buffer_load_dwordx4 a[120:123], v50, s[96:99], 0 offen offset:2048// 00000000A620: E05C1800 80987832
	v_mfma_f32_16x16x32_fp8_fp8 v[240:243], a[58:59], a[138:139], v[240:243]// 00000000A628: D3F300F0 1FC3153A
	v_mfma_f32_16x16x32_fp8_fp8 v[240:243], a[60:61], a[140:141], v[240:243]// 00000000A630: D3F300F0 1FC3193C
	v_mfma_f32_16x16x32_fp8_fp8 v[240:243], a[62:63], a[142:143], v[240:243]// 00000000A638: D3F300F0 1FC31D3E
	v_mfma_f32_16x16x32_fp8_fp8 v[244:247], a[56:57], a[152:153], 0// 00000000A640: D3F300F4 1A033138
	v_mfma_f32_16x16x32_fp8_fp8 v[244:247], a[58:59], a[154:155], v[244:247]// 00000000A648: D3F300F4 1FD3353A
	v_mfma_f32_16x16x32_fp8_fp8 v[244:247], a[60:61], a[156:157], v[244:247]// 00000000A650: D3F300F4 1FD3393C
	v_mfma_f32_16x16x32_fp8_fp8 v[244:247], a[62:63], a[158:159], v[244:247]// 00000000A658: D3F300F4 1FD33D3E
	v_mfma_f32_16x16x32_fp8_fp8 v[248:251], a[56:57], a[168:169], 0// 00000000A660: D3F300F8 1A035138
	buffer_load_dwordx4 a[124:127], v50, s[96:99], 0 offen offset:3072// 00000000A668: E05C1C00 80987C32
	v_mfma_f32_16x16x32_fp8_fp8 v[248:251], a[58:59], a[170:171], v[248:251]// 00000000A670: D3F300F8 1FE3553A
	v_mfma_f32_16x16x32_fp8_fp8 v[248:251], a[60:61], a[172:173], v[248:251]// 00000000A678: D3F300F8 1FE3593C
	v_mfma_f32_16x16x32_fp8_fp8 v[248:251], a[62:63], a[174:175], v[248:251]// 00000000A680: D3F300F8 1FE35D3E
	v_mfma_f32_16x16x32_fp8_fp8 v[252:255], a[56:57], a[184:185], 0// 00000000A688: D3F300FC 1A037138
	v_mfma_f32_16x16x32_fp8_fp8 v[252:255], a[58:59], a[186:187], v[252:255]// 00000000A690: D3F300FC 1FF3753A
	v_mfma_f32_16x16x32_fp8_fp8 v[252:255], a[60:61], a[188:189], v[252:255]// 00000000A698: D3F300FC 1FF3793C
	v_mfma_f32_16x16x32_fp8_fp8 v[252:255], a[62:63], a[190:191], v[252:255]// 00000000A6A0: D3F300FC 1FF37D3E
	v_mul_f32_dpp v60, v37, v25 row_newbcast:2 row_mask:0xf bank_mask:0xf// 00000000A6A8: 0A7832FA FF015225
	v_mov_b32_e32 v61, v60                                     // 00000000A6B0: 7E7A033C
	v_pk_fma_f32 v[64:65], v[192:193], v[60:61], v[64:65]      // 00000000A6B4: D3B04040 1D0279C0
	v_pk_fma_f32 v[66:67], v[194:195], v[60:61], v[66:67]      // 00000000A6BC: D3B04042 1D0A79C2
	v_pk_fma_f32 v[80:81], v[208:209], v[60:61], v[80:81]      // 00000000A6C4: D3B04050 1D4279D0
	v_pk_fma_f32 v[82:83], v[210:211], v[60:61], v[82:83]      // 00000000A6CC: D3B04052 1D4A79D2
	v_mul_f32_dpp v60, v37, v25 row_newbcast:3 row_mask:0xf bank_mask:0xf// 00000000A6D4: 0A7832FA FF015325
	v_mov_b32_e32 v61, v60                                     // 00000000A6DC: 7E7A033C
	v_pk_fma_f32 v[96:97], v[224:225], v[60:61], v[96:97]      // 00000000A6E0: D3B04060 1D8279E0
	v_pk_fma_f32 v[98:99], v[226:227], v[60:61], v[98:99]      // 00000000A6E8: D3B04062 1D8A79E2
	v_pk_fma_f32 v[112:113], v[240:241], v[60:61], v[112:113]  // 00000000A6F0: D3B04070 1DC279F0
	v_pk_fma_f32 v[114:115], v[242:243], v[60:61], v[114:115]  // 00000000A6F8: D3B04072 1DCA79F2
	v_mul_f32_dpp v60, v37, v26 row_newbcast:2 row_mask:0xf bank_mask:0xf// 00000000A700: 0A7834FA FF015225
	v_mov_b32_e32 v61, v60                                     // 00000000A708: 7E7A033C
	v_pk_fma_f32 v[68:69], v[196:197], v[60:61], v[68:69]      // 00000000A70C: D3B04044 1D1279C4
	v_pk_fma_f32 v[70:71], v[198:199], v[60:61], v[70:71]      // 00000000A714: D3B04046 1D1A79C6
	v_pk_fma_f32 v[84:85], v[212:213], v[60:61], v[84:85]      // 00000000A71C: D3B04054 1D5279D4
	v_pk_fma_f32 v[86:87], v[214:215], v[60:61], v[86:87]      // 00000000A724: D3B04056 1D5A79D6
	v_mul_f32_dpp v60, v37, v26 row_newbcast:3 row_mask:0xf bank_mask:0xf// 00000000A72C: 0A7834FA FF015325
	v_mov_b32_e32 v61, v60                                     // 00000000A734: 7E7A033C
	v_pk_fma_f32 v[100:101], v[228:229], v[60:61], v[100:101]  // 00000000A738: D3B04064 1D9279E4
	v_pk_fma_f32 v[102:103], v[230:231], v[60:61], v[102:103]  // 00000000A740: D3B04066 1D9A79E6
	v_pk_fma_f32 v[116:117], v[244:245], v[60:61], v[116:117]  // 00000000A748: D3B04074 1DD279F4
	v_pk_fma_f32 v[118:119], v[246:247], v[60:61], v[118:119]  // 00000000A750: D3B04076 1DDA79F6
	v_mul_f32_dpp v60, v37, v27 row_newbcast:2 row_mask:0xf bank_mask:0xf// 00000000A758: 0A7836FA FF015225
	v_mov_b32_e32 v61, v60                                     // 00000000A760: 7E7A033C
	v_pk_fma_f32 v[72:73], v[200:201], v[60:61], v[72:73]      // 00000000A764: D3B04048 1D2279C8
	v_pk_fma_f32 v[74:75], v[202:203], v[60:61], v[74:75]      // 00000000A76C: D3B0404A 1D2A79CA
	v_pk_fma_f32 v[88:89], v[216:217], v[60:61], v[88:89]      // 00000000A774: D3B04058 1D6279D8
	v_pk_fma_f32 v[90:91], v[218:219], v[60:61], v[90:91]      // 00000000A77C: D3B0405A 1D6A79DA
	v_mul_f32_dpp v60, v37, v27 row_newbcast:3 row_mask:0xf bank_mask:0xf// 00000000A784: 0A7836FA FF015325
	v_mov_b32_e32 v61, v60                                     // 00000000A78C: 7E7A033C
	v_pk_fma_f32 v[104:105], v[232:233], v[60:61], v[104:105]  // 00000000A790: D3B04068 1DA279E8
	v_pk_fma_f32 v[106:107], v[234:235], v[60:61], v[106:107]  // 00000000A798: D3B0406A 1DAA79EA
	v_pk_fma_f32 v[120:121], v[248:249], v[60:61], v[120:121]  // 00000000A7A0: D3B04078 1DE279F8
	v_pk_fma_f32 v[122:123], v[250:251], v[60:61], v[122:123]  // 00000000A7A8: D3B0407A 1DEA79FA
	v_mul_f32_dpp v60, v37, v28 row_newbcast:2 row_mask:0xf bank_mask:0xf// 00000000A7B0: 0A7838FA FF015225
	v_mov_b32_e32 v61, v60                                     // 00000000A7B8: 7E7A033C
	v_pk_fma_f32 v[76:77], v[204:205], v[60:61], v[76:77]      // 00000000A7BC: D3B0404C 1D3279CC
	v_pk_fma_f32 v[78:79], v[206:207], v[60:61], v[78:79]      // 00000000A7C4: D3B0404E 1D3A79CE
	v_pk_fma_f32 v[92:93], v[220:221], v[60:61], v[92:93]      // 00000000A7CC: D3B0405C 1D7279DC
	v_pk_fma_f32 v[94:95], v[222:223], v[60:61], v[94:95]      // 00000000A7D4: D3B0405E 1D7A79DE
	v_mul_f32_dpp v60, v37, v28 row_newbcast:3 row_mask:0xf bank_mask:0xf// 00000000A7DC: 0A7838FA FF015325
	v_mov_b32_e32 v61, v60                                     // 00000000A7E4: 7E7A033C
	v_pk_fma_f32 v[108:109], v[236:237], v[60:61], v[108:109]  // 00000000A7E8: D3B0406C 1DB279EC
	v_pk_fma_f32 v[110:111], v[238:239], v[60:61], v[110:111]  // 00000000A7F0: D3B0406E 1DBA79EE
	v_pk_fma_f32 v[124:125], v[252:253], v[60:61], v[124:125]  // 00000000A7F8: D3B0407C 1DF279FC
	v_pk_fma_f32 v[126:127], v[254:255], v[60:61], v[126:127]  // 00000000A800: D3B0407E 1DFA79FE
	s_add_u32 s56, 0x100, s76                                  // 00000000A808: 80384CFF 00000100
	s_cmp_lt_u32 s56, s77                                      // 00000000A810: BF0A4D38
	s_cselect_b32 s4, s4, 0                                    // 00000000A814: 85048004
	s_add_u32 s32, s4, s32                                     // 00000000A818: 80202004
	s_addc_u32 s33, 0, s33                                     // 00000000A81C: 82212180
	s_waitcnt vmcnt(8)                                         // 00000000A820: BF8C0F78
	s_barrier                                                  // 00000000A824: BF8A0000
	v_mfma_f32_16x16x32_fp8_fp8 v[192:195], a[64:65], a[128:129], 0// 00000000A828: D3F300C0 1A030140
	buffer_load_dwordx4 a[0:3], v47, s[24:27], 0 offen         // 00000000A830: E05C1000 8086002F
	v_mfma_f32_16x16x32_fp8_fp8 v[192:195], a[66:67], a[130:131], v[192:195]// 00000000A838: D3F300C0 1F030542
	v_mfma_f32_16x16x32_fp8_fp8 v[192:195], a[68:69], a[132:133], v[192:195]// 00000000A840: D3F300C0 1F030944
	buffer_load_dword v37, v17, s[32:35], 0 offen              // 00000000A848: E0501000 80082511
	v_mfma_f32_16x16x32_fp8_fp8 v[192:195], a[70:71], a[134:135], v[192:195]// 00000000A850: D3F300C0 1F030D46
	v_mfma_f32_16x16x32_fp8_fp8 v[196:199], a[64:65], a[144:145], 0// 00000000A858: D3F300C4 1A032140
	v_mfma_f32_16x16x32_fp8_fp8 v[196:199], a[66:67], a[146:147], v[196:199]// 00000000A860: D3F300C4 1F132542
	v_mfma_f32_16x16x32_fp8_fp8 v[196:199], a[68:69], a[148:149], v[196:199]// 00000000A868: D3F300C4 1F132944
	v_mfma_f32_16x16x32_fp8_fp8 v[196:199], a[70:71], a[150:151], v[196:199]// 00000000A870: D3F300C4 1F132D46
	v_mfma_f32_16x16x32_fp8_fp8 v[200:203], a[64:65], a[160:161], 0// 00000000A878: D3F300C8 1A034140
	buffer_load_dwordx4 a[4:7], v47, s[24:27], 0 offen offset:1024// 00000000A880: E05C1400 8086042F
	v_mfma_f32_16x16x32_fp8_fp8 v[200:203], a[66:67], a[162:163], v[200:203]// 00000000A888: D3F300C8 1F234542
	v_mfma_f32_16x16x32_fp8_fp8 v[200:203], a[68:69], a[164:165], v[200:203]// 00000000A890: D3F300C8 1F234944
	v_mfma_f32_16x16x32_fp8_fp8 v[200:203], a[70:71], a[166:167], v[200:203]// 00000000A898: D3F300C8 1F234D46
	v_mfma_f32_16x16x32_fp8_fp8 v[204:207], a[64:65], a[176:177], 0// 00000000A8A0: D3F300CC 1A036140
	v_mfma_f32_16x16x32_fp8_fp8 v[204:207], a[66:67], a[178:179], v[204:207]// 00000000A8A8: D3F300CC 1F336542
	v_mfma_f32_16x16x32_fp8_fp8 v[204:207], a[68:69], a[180:181], v[204:207]// 00000000A8B0: D3F300CC 1F336944
	v_mfma_f32_16x16x32_fp8_fp8 v[204:207], a[70:71], a[182:183], v[204:207]// 00000000A8B8: D3F300CC 1F336D46
	v_mfma_f32_16x16x32_fp8_fp8 v[208:211], a[80:81], a[128:129], 0// 00000000A8C0: D3F300D0 1A030150
	buffer_load_dwordx4 a[16:19], v48, s[24:27], 0 offen       // 00000000A8C8: E05C1000 80861030
	v_mfma_f32_16x16x32_fp8_fp8 v[208:211], a[82:83], a[130:131], v[208:211]// 00000000A8D0: D3F300D0 1F430552
	v_mfma_f32_16x16x32_fp8_fp8 v[208:211], a[84:85], a[132:133], v[208:211]// 00000000A8D8: D3F300D0 1F430954
	v_mfma_f32_16x16x32_fp8_fp8 v[208:211], a[86:87], a[134:135], v[208:211]// 00000000A8E0: D3F300D0 1F430D56
	v_mfma_f32_16x16x32_fp8_fp8 v[212:215], a[80:81], a[144:145], 0// 00000000A8E8: D3F300D4 1A032150
	v_mfma_f32_16x16x32_fp8_fp8 v[212:215], a[82:83], a[146:147], v[212:215]// 00000000A8F0: D3F300D4 1F532552
	v_mfma_f32_16x16x32_fp8_fp8 v[212:215], a[84:85], a[148:149], v[212:215]// 00000000A8F8: D3F300D4 1F532954
	v_mfma_f32_16x16x32_fp8_fp8 v[212:215], a[86:87], a[150:151], v[212:215]// 00000000A900: D3F300D4 1F532D56
	v_mfma_f32_16x16x32_fp8_fp8 v[216:219], a[80:81], a[160:161], 0// 00000000A908: D3F300D8 1A034150
	buffer_load_dwordx4 a[20:23], v48, s[24:27], 0 offen offset:1024// 00000000A910: E05C1400 80861430
	v_mfma_f32_16x16x32_fp8_fp8 v[216:219], a[82:83], a[162:163], v[216:219]// 00000000A918: D3F300D8 1F634552
	v_mfma_f32_16x16x32_fp8_fp8 v[216:219], a[84:85], a[164:165], v[216:219]// 00000000A920: D3F300D8 1F634954
	v_mfma_f32_16x16x32_fp8_fp8 v[216:219], a[86:87], a[166:167], v[216:219]// 00000000A928: D3F300D8 1F634D56
	v_mfma_f32_16x16x32_fp8_fp8 v[220:223], a[80:81], a[176:177], 0// 00000000A930: D3F300DC 1A036150
	v_mfma_f32_16x16x32_fp8_fp8 v[220:223], a[82:83], a[178:179], v[220:223]// 00000000A938: D3F300DC 1F736552
	v_mfma_f32_16x16x32_fp8_fp8 v[220:223], a[84:85], a[180:181], v[220:223]// 00000000A940: D3F300DC 1F736954
	v_mfma_f32_16x16x32_fp8_fp8 v[220:223], a[86:87], a[182:183], v[220:223]// 00000000A948: D3F300DC 1F736D56
	s_waitcnt vmcnt(13)                                        // 00000000A950: BF8C0F7D
	v_mfma_f32_16x16x32_fp8_fp8 v[224:227], a[96:97], a[128:129], 0// 00000000A954: D3F300E0 1A030160
	buffer_load_dwordx4 a[32:35], v49, s[24:27], 0 offen       // 00000000A95C: E05C1000 80862031
	v_mfma_f32_16x16x32_fp8_fp8 v[224:227], a[98:99], a[130:131], v[224:227]// 00000000A964: D3F300E0 1F830562
	v_mfma_f32_16x16x32_fp8_fp8 v[224:227], a[100:101], a[132:133], v[224:227]// 00000000A96C: D3F300E0 1F830964
	ds_read_b128 a[192:195], v2 offset:18560                   // 00000000A974: DBFE4880 C0000002
	ds_read_b128 a[196:199], v2 offset:18624                   // 00000000A97C: DBFE48C0 C4000002
	ds_read_b32 v29, v3 offset:35072                           // 00000000A984: D86C8900 1D000003
	ds_read_b32 v30, v3 offset:35328                           // 00000000A98C: D86C8A00 1E000003
	v_mfma_f32_16x16x32_fp8_fp8 v[224:227], a[102:103], a[134:135], v[224:227]// 00000000A994: D3F300E0 1F830D66
	v_mfma_f32_16x16x32_fp8_fp8 v[228:231], a[96:97], a[144:145], 0// 00000000A99C: D3F300E4 1A032160
	v_mfma_f32_16x16x32_fp8_fp8 v[228:231], a[98:99], a[146:147], v[228:231]// 00000000A9A4: D3F300E4 1F932562
	v_mfma_f32_16x16x32_fp8_fp8 v[228:231], a[100:101], a[148:149], v[228:231]// 00000000A9AC: D3F300E4 1F932964
	ds_read_b128 a[200:203], v2 offset:18688                   // 00000000A9B4: DBFE4900 C8000002
	ds_read_b128 a[204:207], v2 offset:18752                   // 00000000A9BC: DBFE4940 CC000002
	ds_read_b32 v31, v3 offset:36096                           // 00000000A9C4: D86C8D00 1F000003
	ds_read_b32 v32, v3 offset:36352                           // 00000000A9CC: D86C8E00 20000003
	v_mfma_f32_16x16x32_fp8_fp8 v[228:231], a[102:103], a[150:151], v[228:231]// 00000000A9D4: D3F300E4 1F932D66
	v_mfma_f32_16x16x32_fp8_fp8 v[232:235], a[96:97], a[160:161], 0// 00000000A9DC: D3F300E8 1A034160
	buffer_load_dwordx4 a[36:39], v49, s[24:27], 0 offen offset:1024// 00000000A9E4: E05C1400 80862431
	v_mfma_f32_16x16x32_fp8_fp8 v[232:235], a[98:99], a[162:163], v[232:235]// 00000000A9EC: D3F300E8 1FA34562
	v_mfma_f32_16x16x32_fp8_fp8 v[232:235], a[100:101], a[164:165], v[232:235]// 00000000A9F4: D3F300E8 1FA34964
	ds_read_b128 a[208:211], v2 offset:19584                   // 00000000A9FC: DBFE4C80 D0000002
	ds_read_b128 a[212:215], v2 offset:19648                   // 00000000AA04: DBFE4CC0 D4000002
	ds_read_b32 v33, v3 offset:35584                           // 00000000AA0C: D86C8B00 21000003
	ds_read_b32 v34, v3 offset:35840                           // 00000000AA14: D86C8C00 22000003
	v_mfma_f32_16x16x32_fp8_fp8 v[232:235], a[102:103], a[166:167], v[232:235]// 00000000AA1C: D3F300E8 1FA34D66
	v_mfma_f32_16x16x32_fp8_fp8 v[236:239], a[96:97], a[176:177], 0// 00000000AA24: D3F300EC 1A036160
	v_mfma_f32_16x16x32_fp8_fp8 v[236:239], a[98:99], a[178:179], v[236:239]// 00000000AA2C: D3F300EC 1FB36562
	v_mfma_f32_16x16x32_fp8_fp8 v[236:239], a[100:101], a[180:181], v[236:239]// 00000000AA34: D3F300EC 1FB36964
	ds_read_b128 a[216:219], v2 offset:19712                   // 00000000AA3C: DBFE4D00 D8000002
	ds_read_b128 a[220:223], v2 offset:19776                   // 00000000AA44: DBFE4D40 DC000002
	ds_read_b32 v35, v3 offset:36608                           // 00000000AA4C: D86C8F00 23000003
	ds_read_b32 v36, v3 offset:36864                           // 00000000AA54: D86C9000 24000003
	v_mfma_f32_16x16x32_fp8_fp8 v[236:239], a[102:103], a[182:183], v[236:239]// 00000000AA5C: D3F300EC 1FB36D66
	s_waitcnt vmcnt(13)                                        // 00000000AA64: BF8C0F7D
	v_mfma_f32_16x16x32_fp8_fp8 v[240:243], a[112:113], a[128:129], 0// 00000000AA68: D3F300F0 1A030170
	buffer_load_dwordx4 a[48:51], v50, s[24:27], 0 offen       // 00000000AA70: E05C1000 80863032
	v_mfma_f32_16x16x32_fp8_fp8 v[240:243], a[114:115], a[130:131], v[240:243]// 00000000AA78: D3F300F0 1FC30572
	v_mfma_f32_16x16x32_fp8_fp8 v[240:243], a[116:117], a[132:133], v[240:243]// 00000000AA80: D3F300F0 1FC30974
	ds_read_b128 a[224:227], v2 offset:20608                   // 00000000AA88: DBFE5080 E0000002
	ds_read_b128 a[228:231], v2 offset:20672                   // 00000000AA90: DBFE50C0 E4000002
	v_mfma_f32_16x16x32_fp8_fp8 v[240:243], a[118:119], a[134:135], v[240:243]// 00000000AA98: D3F300F0 1FC30D76
	v_mfma_f32_16x16x32_fp8_fp8 v[244:247], a[112:113], a[144:145], 0// 00000000AAA0: D3F300F4 1A032170
	v_mfma_f32_16x16x32_fp8_fp8 v[244:247], a[114:115], a[146:147], v[244:247]// 00000000AAA8: D3F300F4 1FD32572
	v_mfma_f32_16x16x32_fp8_fp8 v[244:247], a[116:117], a[148:149], v[244:247]// 00000000AAB0: D3F300F4 1FD32974
	ds_read_b128 a[232:235], v2 offset:20736                   // 00000000AAB8: DBFE5100 E8000002
	ds_read_b128 a[236:239], v2 offset:20800                   // 00000000AAC0: DBFE5140 EC000002
	v_mfma_f32_16x16x32_fp8_fp8 v[244:247], a[118:119], a[150:151], v[244:247]// 00000000AAC8: D3F300F4 1FD32D76
	v_mfma_f32_16x16x32_fp8_fp8 v[248:251], a[112:113], a[160:161], 0// 00000000AAD0: D3F300F8 1A034170
	buffer_load_dwordx4 a[52:55], v50, s[24:27], 0 offen offset:1024// 00000000AAD8: E05C1400 80863432
	v_mfma_f32_16x16x32_fp8_fp8 v[248:251], a[114:115], a[162:163], v[248:251]// 00000000AAE0: D3F300F8 1FE34572
	v_mfma_f32_16x16x32_fp8_fp8 v[248:251], a[116:117], a[164:165], v[248:251]// 00000000AAE8: D3F300F8 1FE34974
	ds_read_b128 a[240:243], v2 offset:21632                   // 00000000AAF0: DBFE5480 F0000002
	ds_read_b128 a[244:247], v2 offset:21696                   // 00000000AAF8: DBFE54C0 F4000002
	v_mfma_f32_16x16x32_fp8_fp8 v[248:251], a[118:119], a[166:167], v[248:251]// 00000000AB00: D3F300F8 1FE34D76
	v_mfma_f32_16x16x32_fp8_fp8 v[252:255], a[112:113], a[176:177], 0// 00000000AB08: D3F300FC 1A036170
	v_mfma_f32_16x16x32_fp8_fp8 v[252:255], a[114:115], a[178:179], v[252:255]// 00000000AB10: D3F300FC 1FF36572
	v_mfma_f32_16x16x32_fp8_fp8 v[252:255], a[116:117], a[180:181], v[252:255]// 00000000AB18: D3F300FC 1FF36974
	ds_read_b128 a[248:251], v2 offset:21760                   // 00000000AB20: DBFE5500 F8000002
	ds_read_b128 a[252:255], v2 offset:21824                   // 00000000AB28: DBFE5540 FC000002
	v_mfma_f32_16x16x32_fp8_fp8 v[252:255], a[118:119], a[182:183], v[252:255]// 00000000AB30: D3F300FC 1FF36D76
	v_mul_f32_dpp v60, v38, v21 row_newbcast:0 row_mask:0xf bank_mask:0xf// 00000000AB38: 0A782AFA FF015026
	v_mov_b32_e32 v61, v60                                     // 00000000AB40: 7E7A033C
	v_pk_fma_f32 v[128:129], v[192:193], v[60:61], v[128:129]  // 00000000AB44: D3B04080 1E0279C0
	v_pk_fma_f32 v[130:131], v[194:195], v[60:61], v[130:131]  // 00000000AB4C: D3B04082 1E0A79C2
	v_pk_fma_f32 v[144:145], v[208:209], v[60:61], v[144:145]  // 00000000AB54: D3B04090 1E4279D0
	v_pk_fma_f32 v[146:147], v[210:211], v[60:61], v[146:147]  // 00000000AB5C: D3B04092 1E4A79D2
	v_mul_f32_dpp v60, v38, v21 row_newbcast:1 row_mask:0xf bank_mask:0xf// 00000000AB64: 0A782AFA FF015126
	v_mov_b32_e32 v61, v60                                     // 00000000AB6C: 7E7A033C
	v_pk_fma_f32 v[160:161], v[224:225], v[60:61], v[160:161]  // 00000000AB70: D3B040A0 1E8279E0
	v_pk_fma_f32 v[162:163], v[226:227], v[60:61], v[162:163]  // 00000000AB78: D3B040A2 1E8A79E2
	v_pk_fma_f32 v[176:177], v[240:241], v[60:61], v[176:177]  // 00000000AB80: D3B040B0 1EC279F0
	v_pk_fma_f32 v[178:179], v[242:243], v[60:61], v[178:179]  // 00000000AB88: D3B040B2 1ECA79F2
	v_mul_f32_dpp v60, v38, v22 row_newbcast:0 row_mask:0xf bank_mask:0xf// 00000000AB90: 0A782CFA FF015026
	v_mov_b32_e32 v61, v60                                     // 00000000AB98: 7E7A033C
	v_pk_fma_f32 v[132:133], v[196:197], v[60:61], v[132:133]  // 00000000AB9C: D3B04084 1E1279C4
	v_pk_fma_f32 v[134:135], v[198:199], v[60:61], v[134:135]  // 00000000ABA4: D3B04086 1E1A79C6
	v_pk_fma_f32 v[148:149], v[212:213], v[60:61], v[148:149]  // 00000000ABAC: D3B04094 1E5279D4
	v_pk_fma_f32 v[150:151], v[214:215], v[60:61], v[150:151]  // 00000000ABB4: D3B04096 1E5A79D6
	v_mul_f32_dpp v60, v38, v22 row_newbcast:1 row_mask:0xf bank_mask:0xf// 00000000ABBC: 0A782CFA FF015126
	v_mov_b32_e32 v61, v60                                     // 00000000ABC4: 7E7A033C
	v_pk_fma_f32 v[164:165], v[228:229], v[60:61], v[164:165]  // 00000000ABC8: D3B040A4 1E9279E4
	v_pk_fma_f32 v[166:167], v[230:231], v[60:61], v[166:167]  // 00000000ABD0: D3B040A6 1E9A79E6
	v_pk_fma_f32 v[180:181], v[244:245], v[60:61], v[180:181]  // 00000000ABD8: D3B040B4 1ED279F4
	v_pk_fma_f32 v[182:183], v[246:247], v[60:61], v[182:183]  // 00000000ABE0: D3B040B6 1EDA79F6
	v_mul_f32_dpp v60, v38, v23 row_newbcast:0 row_mask:0xf bank_mask:0xf// 00000000ABE8: 0A782EFA FF015026
	v_mov_b32_e32 v61, v60                                     // 00000000ABF0: 7E7A033C
	v_pk_fma_f32 v[136:137], v[200:201], v[60:61], v[136:137]  // 00000000ABF4: D3B04088 1E2279C8
	v_pk_fma_f32 v[138:139], v[202:203], v[60:61], v[138:139]  // 00000000ABFC: D3B0408A 1E2A79CA
	v_pk_fma_f32 v[152:153], v[216:217], v[60:61], v[152:153]  // 00000000AC04: D3B04098 1E6279D8
	v_pk_fma_f32 v[154:155], v[218:219], v[60:61], v[154:155]  // 00000000AC0C: D3B0409A 1E6A79DA
	v_mul_f32_dpp v60, v38, v23 row_newbcast:1 row_mask:0xf bank_mask:0xf// 00000000AC14: 0A782EFA FF015126
	v_mov_b32_e32 v61, v60                                     // 00000000AC1C: 7E7A033C
	v_pk_fma_f32 v[168:169], v[232:233], v[60:61], v[168:169]  // 00000000AC20: D3B040A8 1EA279E8
	v_pk_fma_f32 v[170:171], v[234:235], v[60:61], v[170:171]  // 00000000AC28: D3B040AA 1EAA79EA
	v_pk_fma_f32 v[184:185], v[248:249], v[60:61], v[184:185]  // 00000000AC30: D3B040B8 1EE279F8
	v_pk_fma_f32 v[186:187], v[250:251], v[60:61], v[186:187]  // 00000000AC38: D3B040BA 1EEA79FA
	v_mul_f32_dpp v60, v38, v24 row_newbcast:0 row_mask:0xf bank_mask:0xf// 00000000AC40: 0A7830FA FF015026
	v_mov_b32_e32 v61, v60                                     // 00000000AC48: 7E7A033C
	v_pk_fma_f32 v[140:141], v[204:205], v[60:61], v[140:141]  // 00000000AC4C: D3B0408C 1E3279CC
	v_pk_fma_f32 v[142:143], v[206:207], v[60:61], v[142:143]  // 00000000AC54: D3B0408E 1E3A79CE
	v_pk_fma_f32 v[156:157], v[220:221], v[60:61], v[156:157]  // 00000000AC5C: D3B0409C 1E7279DC
	v_pk_fma_f32 v[158:159], v[222:223], v[60:61], v[158:159]  // 00000000AC64: D3B0409E 1E7A79DE
	v_mul_f32_dpp v60, v38, v24 row_newbcast:1 row_mask:0xf bank_mask:0xf// 00000000AC6C: 0A7830FA FF015126
	v_mov_b32_e32 v61, v60                                     // 00000000AC74: 7E7A033C
	v_pk_fma_f32 v[172:173], v[236:237], v[60:61], v[172:173]  // 00000000AC78: D3B040AC 1EB279EC
	v_pk_fma_f32 v[174:175], v[238:239], v[60:61], v[174:175]  // 00000000AC80: D3B040AE 1EBA79EE
	v_pk_fma_f32 v[188:189], v[252:253], v[60:61], v[188:189]  // 00000000AC88: D3B040BC 1EF279FC
	v_pk_fma_f32 v[190:191], v[254:255], v[60:61], v[190:191]  // 00000000AC90: D3B040BE 1EFA79FE
	s_waitcnt vmcnt(13)                                        // 00000000AC98: BF8C0F7D
	v_mfma_f32_16x16x32_fp8_fp8 v[192:195], a[72:73], a[136:137], 0// 00000000AC9C: D3F300C0 1A031148
	buffer_load_dwordx4 a[8:11], v47, s[24:27], 0 offen offset:2048// 00000000ACA4: E05C1800 8086082F
	v_mfma_f32_16x16x32_fp8_fp8 v[192:195], a[74:75], a[138:139], v[192:195]// 00000000ACAC: D3F300C0 1F03154A
	v_mfma_f32_16x16x32_fp8_fp8 v[192:195], a[76:77], a[140:141], v[192:195]// 00000000ACB4: D3F300C0 1F03194C
	v_mfma_f32_16x16x32_fp8_fp8 v[192:195], a[78:79], a[142:143], v[192:195]// 00000000ACBC: D3F300C0 1F031D4E
	v_mfma_f32_16x16x32_fp8_fp8 v[196:199], a[72:73], a[152:153], 0// 00000000ACC4: D3F300C4 1A033148
	v_mfma_f32_16x16x32_fp8_fp8 v[196:199], a[74:75], a[154:155], v[196:199]// 00000000ACCC: D3F300C4 1F13354A
	v_mfma_f32_16x16x32_fp8_fp8 v[196:199], a[76:77], a[156:157], v[196:199]// 00000000ACD4: D3F300C4 1F13394C
	v_mfma_f32_16x16x32_fp8_fp8 v[196:199], a[78:79], a[158:159], v[196:199]// 00000000ACDC: D3F300C4 1F133D4E
	v_mfma_f32_16x16x32_fp8_fp8 v[200:203], a[72:73], a[168:169], 0// 00000000ACE4: D3F300C8 1A035148
	buffer_load_dwordx4 a[12:15], v47, s[24:27], 0 offen offset:3072// 00000000ACEC: E05C1C00 80860C2F
	v_mfma_f32_16x16x32_fp8_fp8 v[200:203], a[74:75], a[170:171], v[200:203]// 00000000ACF4: D3F300C8 1F23554A
	v_mfma_f32_16x16x32_fp8_fp8 v[200:203], a[76:77], a[172:173], v[200:203]// 00000000ACFC: D3F300C8 1F23594C
	v_mfma_f32_16x16x32_fp8_fp8 v[200:203], a[78:79], a[174:175], v[200:203]// 00000000AD04: D3F300C8 1F235D4E
	v_mfma_f32_16x16x32_fp8_fp8 v[204:207], a[72:73], a[184:185], 0// 00000000AD0C: D3F300CC 1A037148
	v_mfma_f32_16x16x32_fp8_fp8 v[204:207], a[74:75], a[186:187], v[204:207]// 00000000AD14: D3F300CC 1F33754A
	v_mfma_f32_16x16x32_fp8_fp8 v[204:207], a[76:77], a[188:189], v[204:207]// 00000000AD1C: D3F300CC 1F33794C
	v_mfma_f32_16x16x32_fp8_fp8 v[204:207], a[78:79], a[190:191], v[204:207]// 00000000AD24: D3F300CC 1F337D4E
	s_waitcnt vmcnt(13)                                        // 00000000AD2C: BF8C0F7D
	v_mfma_f32_16x16x32_fp8_fp8 v[208:211], a[88:89], a[136:137], 0// 00000000AD30: D3F300D0 1A031158
	buffer_load_dwordx4 a[24:27], v48, s[24:27], 0 offen offset:2048// 00000000AD38: E05C1800 80861830
	v_mfma_f32_16x16x32_fp8_fp8 v[208:211], a[90:91], a[138:139], v[208:211]// 00000000AD40: D3F300D0 1F43155A
	v_mfma_f32_16x16x32_fp8_fp8 v[208:211], a[92:93], a[140:141], v[208:211]// 00000000AD48: D3F300D0 1F43195C
	v_mfma_f32_16x16x32_fp8_fp8 v[208:211], a[94:95], a[142:143], v[208:211]// 00000000AD50: D3F300D0 1F431D5E
	v_mfma_f32_16x16x32_fp8_fp8 v[212:215], a[88:89], a[152:153], 0// 00000000AD58: D3F300D4 1A033158
	v_mfma_f32_16x16x32_fp8_fp8 v[212:215], a[90:91], a[154:155], v[212:215]// 00000000AD60: D3F300D4 1F53355A
	v_mfma_f32_16x16x32_fp8_fp8 v[212:215], a[92:93], a[156:157], v[212:215]// 00000000AD68: D3F300D4 1F53395C
	v_mfma_f32_16x16x32_fp8_fp8 v[212:215], a[94:95], a[158:159], v[212:215]// 00000000AD70: D3F300D4 1F533D5E
	v_mfma_f32_16x16x32_fp8_fp8 v[216:219], a[88:89], a[168:169], 0// 00000000AD78: D3F300D8 1A035158
	buffer_load_dwordx4 a[28:31], v48, s[24:27], 0 offen offset:3072// 00000000AD80: E05C1C00 80861C30
	v_mfma_f32_16x16x32_fp8_fp8 v[216:219], a[90:91], a[170:171], v[216:219]// 00000000AD88: D3F300D8 1F63555A
	v_mfma_f32_16x16x32_fp8_fp8 v[216:219], a[92:93], a[172:173], v[216:219]// 00000000AD90: D3F300D8 1F63595C
	v_mfma_f32_16x16x32_fp8_fp8 v[216:219], a[94:95], a[174:175], v[216:219]// 00000000AD98: D3F300D8 1F635D5E
	v_mfma_f32_16x16x32_fp8_fp8 v[220:223], a[88:89], a[184:185], 0// 00000000ADA0: D3F300DC 1A037158
	v_mfma_f32_16x16x32_fp8_fp8 v[220:223], a[90:91], a[186:187], v[220:223]// 00000000ADA8: D3F300DC 1F73755A
	v_mfma_f32_16x16x32_fp8_fp8 v[220:223], a[92:93], a[188:189], v[220:223]// 00000000ADB0: D3F300DC 1F73795C
	v_mfma_f32_16x16x32_fp8_fp8 v[220:223], a[94:95], a[190:191], v[220:223]// 00000000ADB8: D3F300DC 1F737D5E
	s_waitcnt vmcnt(13)                                        // 00000000ADC0: BF8C0F7D
	v_mfma_f32_16x16x32_fp8_fp8 v[224:227], a[104:105], a[136:137], 0// 00000000ADC4: D3F300E0 1A031168
	buffer_load_dwordx4 a[40:43], v49, s[24:27], 0 offen offset:2048// 00000000ADCC: E05C1800 80862831
	v_mfma_f32_16x16x32_fp8_fp8 v[224:227], a[106:107], a[138:139], v[224:227]// 00000000ADD4: D3F300E0 1F83156A
	v_mfma_f32_16x16x32_fp8_fp8 v[224:227], a[108:109], a[140:141], v[224:227]// 00000000ADDC: D3F300E0 1F83196C
	v_mfma_f32_16x16x32_fp8_fp8 v[224:227], a[110:111], a[142:143], v[224:227]// 00000000ADE4: D3F300E0 1F831D6E
	v_mfma_f32_16x16x32_fp8_fp8 v[228:231], a[104:105], a[152:153], 0// 00000000ADEC: D3F300E4 1A033168
	v_mfma_f32_16x16x32_fp8_fp8 v[228:231], a[106:107], a[154:155], v[228:231]// 00000000ADF4: D3F300E4 1F93356A
	v_mfma_f32_16x16x32_fp8_fp8 v[228:231], a[108:109], a[156:157], v[228:231]// 00000000ADFC: D3F300E4 1F93396C
	v_mfma_f32_16x16x32_fp8_fp8 v[228:231], a[110:111], a[158:159], v[228:231]// 00000000AE04: D3F300E4 1F933D6E
	v_mfma_f32_16x16x32_fp8_fp8 v[232:235], a[104:105], a[168:169], 0// 00000000AE0C: D3F300E8 1A035168
	buffer_load_dwordx4 a[44:47], v49, s[24:27], 0 offen offset:3072// 00000000AE14: E05C1C00 80862C31
	v_mfma_f32_16x16x32_fp8_fp8 v[232:235], a[106:107], a[170:171], v[232:235]// 00000000AE1C: D3F300E8 1FA3556A
	v_mfma_f32_16x16x32_fp8_fp8 v[232:235], a[108:109], a[172:173], v[232:235]// 00000000AE24: D3F300E8 1FA3596C
	v_mfma_f32_16x16x32_fp8_fp8 v[232:235], a[110:111], a[174:175], v[232:235]// 00000000AE2C: D3F300E8 1FA35D6E
	v_mfma_f32_16x16x32_fp8_fp8 v[236:239], a[104:105], a[184:185], 0// 00000000AE34: D3F300EC 1A037168
	v_mfma_f32_16x16x32_fp8_fp8 v[236:239], a[106:107], a[186:187], v[236:239]// 00000000AE3C: D3F300EC 1FB3756A
	v_mfma_f32_16x16x32_fp8_fp8 v[236:239], a[108:109], a[188:189], v[236:239]// 00000000AE44: D3F300EC 1FB3796C
	v_mfma_f32_16x16x32_fp8_fp8 v[236:239], a[110:111], a[190:191], v[236:239]// 00000000AE4C: D3F300EC 1FB37D6E
	s_waitcnt vmcnt(13)                                        // 00000000AE54: BF8C0F7D
	v_mfma_f32_16x16x32_fp8_fp8 v[240:243], a[120:121], a[136:137], 0// 00000000AE58: D3F300F0 1A031178
	buffer_load_dwordx4 a[56:59], v50, s[24:27], 0 offen offset:2048// 00000000AE60: E05C1800 80863832
	v_mfma_f32_16x16x32_fp8_fp8 v[240:243], a[122:123], a[138:139], v[240:243]// 00000000AE68: D3F300F0 1FC3157A
	v_mfma_f32_16x16x32_fp8_fp8 v[240:243], a[124:125], a[140:141], v[240:243]// 00000000AE70: D3F300F0 1FC3197C
	v_mfma_f32_16x16x32_fp8_fp8 v[240:243], a[126:127], a[142:143], v[240:243]// 00000000AE78: D3F300F0 1FC31D7E
	v_mfma_f32_16x16x32_fp8_fp8 v[244:247], a[120:121], a[152:153], 0// 00000000AE80: D3F300F4 1A033178
	v_mfma_f32_16x16x32_fp8_fp8 v[244:247], a[122:123], a[154:155], v[244:247]// 00000000AE88: D3F300F4 1FD3357A
	v_mfma_f32_16x16x32_fp8_fp8 v[244:247], a[124:125], a[156:157], v[244:247]// 00000000AE90: D3F300F4 1FD3397C
	v_mfma_f32_16x16x32_fp8_fp8 v[244:247], a[126:127], a[158:159], v[244:247]// 00000000AE98: D3F300F4 1FD33D7E
	v_mfma_f32_16x16x32_fp8_fp8 v[248:251], a[120:121], a[168:169], 0// 00000000AEA0: D3F300F8 1A035178
	buffer_load_dwordx4 a[60:63], v50, s[24:27], 0 offen offset:3072// 00000000AEA8: E05C1C00 80863C32
	v_mfma_f32_16x16x32_fp8_fp8 v[248:251], a[122:123], a[170:171], v[248:251]// 00000000AEB0: D3F300F8 1FE3557A
	v_mfma_f32_16x16x32_fp8_fp8 v[248:251], a[124:125], a[172:173], v[248:251]// 00000000AEB8: D3F300F8 1FE3597C
	v_mfma_f32_16x16x32_fp8_fp8 v[248:251], a[126:127], a[174:175], v[248:251]// 00000000AEC0: D3F300F8 1FE35D7E
	v_mfma_f32_16x16x32_fp8_fp8 v[252:255], a[120:121], a[184:185], 0// 00000000AEC8: D3F300FC 1A037178
	v_mfma_f32_16x16x32_fp8_fp8 v[252:255], a[122:123], a[186:187], v[252:255]// 00000000AED0: D3F300FC 1FF3757A
	v_mfma_f32_16x16x32_fp8_fp8 v[252:255], a[124:125], a[188:189], v[252:255]// 00000000AED8: D3F300FC 1FF3797C
	v_mfma_f32_16x16x32_fp8_fp8 v[252:255], a[126:127], a[190:191], v[252:255]// 00000000AEE0: D3F300FC 1FF37D7E
	v_mul_f32_dpp v60, v38, v25 row_newbcast:2 row_mask:0xf bank_mask:0xf// 00000000AEE8: 0A7832FA FF015226
	v_mov_b32_e32 v61, v60                                     // 00000000AEF0: 7E7A033C
	v_pk_fma_f32 v[128:129], v[192:193], v[60:61], v[128:129]  // 00000000AEF4: D3B04080 1E0279C0
	v_pk_fma_f32 v[130:131], v[194:195], v[60:61], v[130:131]  // 00000000AEFC: D3B04082 1E0A79C2
	v_pk_fma_f32 v[144:145], v[208:209], v[60:61], v[144:145]  // 00000000AF04: D3B04090 1E4279D0
	v_pk_fma_f32 v[146:147], v[210:211], v[60:61], v[146:147]  // 00000000AF0C: D3B04092 1E4A79D2
	v_mul_f32_dpp v60, v38, v25 row_newbcast:3 row_mask:0xf bank_mask:0xf// 00000000AF14: 0A7832FA FF015326
	v_mov_b32_e32 v61, v60                                     // 00000000AF1C: 7E7A033C
	v_pk_fma_f32 v[160:161], v[224:225], v[60:61], v[160:161]  // 00000000AF20: D3B040A0 1E8279E0
	v_pk_fma_f32 v[162:163], v[226:227], v[60:61], v[162:163]  // 00000000AF28: D3B040A2 1E8A79E2
	v_pk_fma_f32 v[176:177], v[240:241], v[60:61], v[176:177]  // 00000000AF30: D3B040B0 1EC279F0
	v_pk_fma_f32 v[178:179], v[242:243], v[60:61], v[178:179]  // 00000000AF38: D3B040B2 1ECA79F2
	v_mul_f32_dpp v60, v38, v26 row_newbcast:2 row_mask:0xf bank_mask:0xf// 00000000AF40: 0A7834FA FF015226
	v_mov_b32_e32 v61, v60                                     // 00000000AF48: 7E7A033C
	v_pk_fma_f32 v[132:133], v[196:197], v[60:61], v[132:133]  // 00000000AF4C: D3B04084 1E1279C4
	v_pk_fma_f32 v[134:135], v[198:199], v[60:61], v[134:135]  // 00000000AF54: D3B04086 1E1A79C6
	v_pk_fma_f32 v[148:149], v[212:213], v[60:61], v[148:149]  // 00000000AF5C: D3B04094 1E5279D4
	v_pk_fma_f32 v[150:151], v[214:215], v[60:61], v[150:151]  // 00000000AF64: D3B04096 1E5A79D6
	v_mul_f32_dpp v60, v38, v26 row_newbcast:3 row_mask:0xf bank_mask:0xf// 00000000AF6C: 0A7834FA FF015326
	v_mov_b32_e32 v61, v60                                     // 00000000AF74: 7E7A033C
	v_pk_fma_f32 v[164:165], v[228:229], v[60:61], v[164:165]  // 00000000AF78: D3B040A4 1E9279E4
	v_pk_fma_f32 v[166:167], v[230:231], v[60:61], v[166:167]  // 00000000AF80: D3B040A6 1E9A79E6
	v_pk_fma_f32 v[180:181], v[244:245], v[60:61], v[180:181]  // 00000000AF88: D3B040B4 1ED279F4
	v_pk_fma_f32 v[182:183], v[246:247], v[60:61], v[182:183]  // 00000000AF90: D3B040B6 1EDA79F6
	v_mul_f32_dpp v60, v38, v27 row_newbcast:2 row_mask:0xf bank_mask:0xf// 00000000AF98: 0A7836FA FF015226
	v_mov_b32_e32 v61, v60                                     // 00000000AFA0: 7E7A033C
	v_pk_fma_f32 v[136:137], v[200:201], v[60:61], v[136:137]  // 00000000AFA4: D3B04088 1E2279C8
	v_pk_fma_f32 v[138:139], v[202:203], v[60:61], v[138:139]  // 00000000AFAC: D3B0408A 1E2A79CA
	v_pk_fma_f32 v[152:153], v[216:217], v[60:61], v[152:153]  // 00000000AFB4: D3B04098 1E6279D8
	v_pk_fma_f32 v[154:155], v[218:219], v[60:61], v[154:155]  // 00000000AFBC: D3B0409A 1E6A79DA
	v_mul_f32_dpp v60, v38, v27 row_newbcast:3 row_mask:0xf bank_mask:0xf// 00000000AFC4: 0A7836FA FF015326
	v_mov_b32_e32 v61, v60                                     // 00000000AFCC: 7E7A033C
	v_pk_fma_f32 v[168:169], v[232:233], v[60:61], v[168:169]  // 00000000AFD0: D3B040A8 1EA279E8
	v_pk_fma_f32 v[170:171], v[234:235], v[60:61], v[170:171]  // 00000000AFD8: D3B040AA 1EAA79EA
	v_pk_fma_f32 v[184:185], v[248:249], v[60:61], v[184:185]  // 00000000AFE0: D3B040B8 1EE279F8
	v_pk_fma_f32 v[186:187], v[250:251], v[60:61], v[186:187]  // 00000000AFE8: D3B040BA 1EEA79FA
	v_mul_f32_dpp v60, v38, v28 row_newbcast:2 row_mask:0xf bank_mask:0xf// 00000000AFF0: 0A7838FA FF015226
	v_mov_b32_e32 v61, v60                                     // 00000000AFF8: 7E7A033C
	v_pk_fma_f32 v[140:141], v[204:205], v[60:61], v[140:141]  // 00000000AFFC: D3B0408C 1E3279CC
	v_pk_fma_f32 v[142:143], v[206:207], v[60:61], v[142:143]  // 00000000B004: D3B0408E 1E3A79CE
	v_pk_fma_f32 v[156:157], v[220:221], v[60:61], v[156:157]  // 00000000B00C: D3B0409C 1E7279DC
	v_pk_fma_f32 v[158:159], v[222:223], v[60:61], v[158:159]  // 00000000B014: D3B0409E 1E7A79DE
	v_mul_f32_dpp v60, v38, v28 row_newbcast:3 row_mask:0xf bank_mask:0xf// 00000000B01C: 0A7838FA FF015326
	v_mov_b32_e32 v61, v60                                     // 00000000B024: 7E7A033C
	v_pk_fma_f32 v[172:173], v[236:237], v[60:61], v[172:173]  // 00000000B028: D3B040AC 1EB279EC
	v_pk_fma_f32 v[174:175], v[238:239], v[60:61], v[174:175]  // 00000000B030: D3B040AE 1EBA79EE
	v_pk_fma_f32 v[188:189], v[252:253], v[60:61], v[188:189]  // 00000000B038: D3B040BC 1EF279FC
	v_pk_fma_f32 v[190:191], v[254:255], v[60:61], v[190:191]  // 00000000B040: D3B040BE 1EFA79FE
	s_add_u32 s56, 0x200, s76                                  // 00000000B048: 80384CFF 00000200
	s_cmp_lt_u32 s56, s77                                      // 00000000B050: BF0A4D38
	s_cselect_b32 s53, s53, 0                                  // 00000000B054: 85358035
	s_cselect_b32 s3, s3, 0                                    // 00000000B058: 85038003
	s_add_u32 s56, 0x200, s76                                  // 00000000B05C: 80384CFF 00000200
	s_cmp_lt_u32 s56, s77                                      // 00000000B064: BF0A4D38
	s_cselect_b32 s54, s54, 0                                  // 00000000B068: 85368036
	s_add_u32 s20, s53, s20                                    // 00000000B06C: 80141435
	s_addc_u32 s21, 0, s21                                     // 00000000B070: 82151580
	s_add_u32 s28, s3, s28                                     // 00000000B074: 801C1C03
	s_addc_u32 s29, 0, s29                                     // 00000000B078: 821D1D80
	s_add_u32 s24, s54, s24                                    // 00000000B07C: 80181836
	s_addc_u32 s25, 0, s25                                     // 00000000B080: 82191980
	s_add_u32 s96, s94, s96                                    // 00000000B084: 8060605E
	s_addc_u32 s97, 0, s97                                     // 00000000B088: 82616180
	s_addk_i32 s76, 0x100                                      // 00000000B08C: B74C0100
	s_cmp_lt_i32 s76, s77                                      // 00000000B090: BF044D4C
	s_cbranch_scc0 label_251B                                  // 00000000B094: BF840475
	s_waitcnt vmcnt(8) lgkmcnt(0)                              // 00000000B098: BF8C0078
	s_barrier                                                  // 00000000B09C: BF8A0000
	v_mfma_f32_16x16x32_fp8_fp8 v[192:195], a[0:1], a[192:193], 0// 00000000B0A0: D3F300C0 1A038100
	buffer_load_dwordx4 a[64:67], v47, s[96:99], 0 offen       // 00000000B0A8: E05C1000 8098402F
	v_mfma_f32_16x16x32_fp8_fp8 v[192:195], a[2:3], a[194:195], v[192:195]// 00000000B0B0: D3F300C0 1F038502
	v_mfma_f32_16x16x32_fp8_fp8 v[192:195], a[4:5], a[196:197], v[192:195]// 00000000B0B8: D3F300C0 1F038904
	buffer_load_dword v43, s[20:23], 0 offen lds               // 00000000B0C0: E0511000 8005002B
	s_mul_i32 s56, s80, s64                                    // 00000000B0C8: 92384050
	v_lshl_add_u32 v45, v0, 2, s56                             // 00000000B0CC: D1FD002D 00E10500
	s_add_u32 m0, 0x100, s48                                   // 00000000B0D4: 807C30FF 00000100
	v_mfma_f32_16x16x32_fp8_fp8 v[192:195], a[6:7], a[198:199], v[192:195]// 00000000B0DC: D3F300C0 1F038D06
	v_mfma_f32_16x16x32_fp8_fp8 v[196:199], a[0:1], a[208:209], 0// 00000000B0E4: D3F300C4 1A03A100
	v_mfma_f32_16x16x32_fp8_fp8 v[196:199], a[2:3], a[210:211], v[196:199]// 00000000B0EC: D3F300C4 1F13A502
	v_mfma_f32_16x16x32_fp8_fp8 v[196:199], a[4:5], a[212:213], v[196:199]// 00000000B0F4: D3F300C4 1F13A904
	buffer_load_dword v44, s[20:23], 0 offen lds               // 00000000B0FC: E0511000 8005002C
	s_mul_i32 s56, s81, s64                                    // 00000000B104: 92384051
	v_lshl_add_u32 v46, v0, 2, s56                             // 00000000B108: D1FD002E 00E10500
	s_add_u32 m0, 0x200, s48                                   // 00000000B110: 807C30FF 00000200
	v_mfma_f32_16x16x32_fp8_fp8 v[196:199], a[6:7], a[214:215], v[196:199]// 00000000B118: D3F300C4 1F13AD06
	v_mfma_f32_16x16x32_fp8_fp8 v[200:203], a[0:1], a[224:225], 0// 00000000B120: D3F300C8 1A03C100
	buffer_load_dwordx4 a[68:71], v47, s[96:99], 0 offen offset:1024// 00000000B128: E05C1400 8098442F
	v_mfma_f32_16x16x32_fp8_fp8 v[200:203], a[2:3], a[226:227], v[200:203]// 00000000B130: D3F300C8 1F23C502
	v_mfma_f32_16x16x32_fp8_fp8 v[200:203], a[4:5], a[228:229], v[200:203]// 00000000B138: D3F300C8 1F23C904
	buffer_load_dword v45, s[20:23], 0 offen lds               // 00000000B140: E0511000 8005002D
	s_mul_i32 s56, s82, s64                                    // 00000000B148: 92384052
	v_lshl_add_u32 v43, v0, 2, s56                             // 00000000B14C: D1FD002B 00E10500
	s_add_u32 m0, 0x300, s48                                   // 00000000B154: 807C30FF 00000300
	v_mfma_f32_16x16x32_fp8_fp8 v[200:203], a[6:7], a[230:231], v[200:203]// 00000000B15C: D3F300C8 1F23CD06
	v_mfma_f32_16x16x32_fp8_fp8 v[204:207], a[0:1], a[240:241], 0// 00000000B164: D3F300CC 1A03E100
	v_mfma_f32_16x16x32_fp8_fp8 v[204:207], a[2:3], a[242:243], v[204:207]// 00000000B16C: D3F300CC 1F33E502
	v_mfma_f32_16x16x32_fp8_fp8 v[204:207], a[4:5], a[244:245], v[204:207]// 00000000B174: D3F300CC 1F33E904
	buffer_load_dword v46, s[20:23], 0 offen lds               // 00000000B17C: E0511000 8005002E
	s_mul_i32 s56, s83, s64                                    // 00000000B184: 92384053
	v_lshl_add_u32 v44, v0, 2, s56                             // 00000000B188: D1FD002C 00E10500
	s_add_u32 m0, 0x400, s48                                   // 00000000B190: 807C30FF 00000400
	v_mfma_f32_16x16x32_fp8_fp8 v[204:207], a[6:7], a[246:247], v[204:207]// 00000000B198: D3F300CC 1F33ED06
	v_mfma_f32_16x16x32_fp8_fp8 v[208:211], a[16:17], a[192:193], 0// 00000000B1A0: D3F300D0 1A038110
	buffer_load_dwordx4 a[80:83], v48, s[96:99], 0 offen       // 00000000B1A8: E05C1000 80985030
	v_mfma_f32_16x16x32_fp8_fp8 v[208:211], a[18:19], a[194:195], v[208:211]// 00000000B1B0: D3F300D0 1F438512
	v_mfma_f32_16x16x32_fp8_fp8 v[208:211], a[20:21], a[196:197], v[208:211]// 00000000B1B8: D3F300D0 1F438914
	buffer_load_dword v43, s[20:23], 0 offen lds               // 00000000B1C0: E0511000 8005002B
	s_mul_i32 s56, s84, s64                                    // 00000000B1C8: 92384054
	v_lshl_add_u32 v45, v0, 2, s56                             // 00000000B1CC: D1FD002D 00E10500
	s_add_u32 m0, 0x500, s48                                   // 00000000B1D4: 807C30FF 00000500
	v_mfma_f32_16x16x32_fp8_fp8 v[208:211], a[22:23], a[198:199], v[208:211]// 00000000B1DC: D3F300D0 1F438D16
	v_mfma_f32_16x16x32_fp8_fp8 v[212:215], a[16:17], a[208:209], 0// 00000000B1E4: D3F300D4 1A03A110
	v_mfma_f32_16x16x32_fp8_fp8 v[212:215], a[18:19], a[210:211], v[212:215]// 00000000B1EC: D3F300D4 1F53A512
	v_mfma_f32_16x16x32_fp8_fp8 v[212:215], a[20:21], a[212:213], v[212:215]// 00000000B1F4: D3F300D4 1F53A914
	buffer_load_dword v44, s[20:23], 0 offen lds               // 00000000B1FC: E0511000 8005002C
	s_mul_i32 s56, s85, s64                                    // 00000000B204: 92384055
	v_lshl_add_u32 v46, v0, 2, s56                             // 00000000B208: D1FD002E 00E10500
	s_add_u32 m0, 0x600, s48                                   // 00000000B210: 807C30FF 00000600
	v_mfma_f32_16x16x32_fp8_fp8 v[212:215], a[22:23], a[214:215], v[212:215]// 00000000B218: D3F300D4 1F53AD16
	v_mfma_f32_16x16x32_fp8_fp8 v[216:219], a[16:17], a[224:225], 0// 00000000B220: D3F300D8 1A03C110
	buffer_load_dwordx4 a[84:87], v48, s[96:99], 0 offen offset:1024// 00000000B228: E05C1400 80985430
	v_mfma_f32_16x16x32_fp8_fp8 v[216:219], a[18:19], a[226:227], v[216:219]// 00000000B230: D3F300D8 1F63C512
	v_mfma_f32_16x16x32_fp8_fp8 v[216:219], a[20:21], a[228:229], v[216:219]// 00000000B238: D3F300D8 1F63C914
	buffer_load_dword v45, s[20:23], 0 offen lds               // 00000000B240: E0511000 8005002D
	s_mul_i32 s56, s86, s64                                    // 00000000B248: 92384056
	v_lshl_add_u32 v43, v0, 2, s56                             // 00000000B24C: D1FD002B 00E10500
	s_add_u32 m0, 0x700, s48                                   // 00000000B254: 807C30FF 00000700
	v_mfma_f32_16x16x32_fp8_fp8 v[216:219], a[22:23], a[230:231], v[216:219]// 00000000B25C: D3F300D8 1F63CD16
	v_mfma_f32_16x16x32_fp8_fp8 v[220:223], a[16:17], a[240:241], 0// 00000000B264: D3F300DC 1A03E110
	v_mfma_f32_16x16x32_fp8_fp8 v[220:223], a[18:19], a[242:243], v[220:223]// 00000000B26C: D3F300DC 1F73E512
	v_mfma_f32_16x16x32_fp8_fp8 v[220:223], a[20:21], a[244:245], v[220:223]// 00000000B274: D3F300DC 1F73E914
	buffer_load_dword v46, s[20:23], 0 offen lds               // 00000000B27C: E0511000 8005002E
	s_mul_i32 s56, s87, s64                                    // 00000000B284: 92384057
	v_lshl_add_u32 v44, v0, 2, s56                             // 00000000B288: D1FD002C 00E10500
	s_add_u32 m0, 0x800, s48                                   // 00000000B290: 807C30FF 00000800
	v_mfma_f32_16x16x32_fp8_fp8 v[220:223], a[22:23], a[246:247], v[220:223]// 00000000B298: D3F300DC 1F73ED16
	s_waitcnt vmcnt(31)                                        // 00000000B2A0: BF8C4F7F
	v_mfma_f32_16x16x32_fp8_fp8 v[224:227], a[32:33], a[192:193], 0// 00000000B2A4: D3F300E0 1A038120
	buffer_load_dwordx4 a[96:99], v49, s[96:99], 0 offen       // 00000000B2AC: E05C1000 80986031
	v_mfma_f32_16x16x32_fp8_fp8 v[224:227], a[34:35], a[194:195], v[224:227]// 00000000B2B4: D3F300E0 1F838522
	v_mfma_f32_16x16x32_fp8_fp8 v[224:227], a[36:37], a[196:197], v[224:227]// 00000000B2BC: D3F300E0 1F838924
	buffer_load_dword v43, s[20:23], 0 offen lds               // 00000000B2C4: E0511000 8005002B
	s_mul_i32 s56, s88, s64                                    // 00000000B2CC: 92384058
	v_lshl_add_u32 v45, v0, 2, s56                             // 00000000B2D0: D1FD002D 00E10500
	s_add_u32 m0, 0x900, s48                                   // 00000000B2D8: 807C30FF 00000900
	v_mfma_f32_16x16x32_fp8_fp8 v[224:227], a[38:39], a[198:199], v[224:227]// 00000000B2E0: D3F300E0 1F838D26
	v_mfma_f32_16x16x32_fp8_fp8 v[228:231], a[32:33], a[208:209], 0// 00000000B2E8: D3F300E4 1A03A120
	v_mfma_f32_16x16x32_fp8_fp8 v[228:231], a[34:35], a[210:211], v[228:231]// 00000000B2F0: D3F300E4 1F93A522
	v_mfma_f32_16x16x32_fp8_fp8 v[228:231], a[36:37], a[212:213], v[228:231]// 00000000B2F8: D3F300E4 1F93A924
	buffer_load_dword v44, s[20:23], 0 offen lds               // 00000000B300: E0511000 8005002C
	s_mul_i32 s56, s89, s64                                    // 00000000B308: 92384059
	v_lshl_add_u32 v46, v0, 2, s56                             // 00000000B30C: D1FD002E 00E10500
	s_add_u32 m0, 0xa00, s48                                   // 00000000B314: 807C30FF 00000A00
	v_mfma_f32_16x16x32_fp8_fp8 v[228:231], a[38:39], a[214:215], v[228:231]// 00000000B31C: D3F300E4 1F93AD26
	v_mfma_f32_16x16x32_fp8_fp8 v[232:235], a[32:33], a[224:225], 0// 00000000B324: D3F300E8 1A03C120
	buffer_load_dwordx4 a[100:103], v49, s[96:99], 0 offen offset:1024// 00000000B32C: E05C1400 80986431
	v_mfma_f32_16x16x32_fp8_fp8 v[232:235], a[34:35], a[226:227], v[232:235]// 00000000B334: D3F300E8 1FA3C522
	v_mfma_f32_16x16x32_fp8_fp8 v[232:235], a[36:37], a[228:229], v[232:235]// 00000000B33C: D3F300E8 1FA3C924
	buffer_load_dword v45, s[20:23], 0 offen lds               // 00000000B344: E0511000 8005002D
	s_mul_i32 s56, s90, s64                                    // 00000000B34C: 9238405A
	v_lshl_add_u32 v43, v0, 2, s56                             // 00000000B350: D1FD002B 00E10500
	s_add_u32 m0, 0xb00, s48                                   // 00000000B358: 807C30FF 00000B00
	v_mfma_f32_16x16x32_fp8_fp8 v[232:235], a[38:39], a[230:231], v[232:235]// 00000000B360: D3F300E8 1FA3CD26
	v_mfma_f32_16x16x32_fp8_fp8 v[236:239], a[32:33], a[240:241], 0// 00000000B368: D3F300EC 1A03E120
	v_mfma_f32_16x16x32_fp8_fp8 v[236:239], a[34:35], a[242:243], v[236:239]// 00000000B370: D3F300EC 1FB3E522
	v_mfma_f32_16x16x32_fp8_fp8 v[236:239], a[36:37], a[244:245], v[236:239]// 00000000B378: D3F300EC 1FB3E924
	buffer_load_dword v46, s[20:23], 0 offen lds               // 00000000B380: E0511000 8005002E
	s_mul_i32 s56, s91, s64                                    // 00000000B388: 9238405B
	v_lshl_add_u32 v44, v0, 2, s56                             // 00000000B38C: D1FD002C 00E10500
	s_add_u32 m0, 0xc00, s48                                   // 00000000B394: 807C30FF 00000C00
	v_mfma_f32_16x16x32_fp8_fp8 v[236:239], a[38:39], a[246:247], v[236:239]// 00000000B39C: D3F300EC 1FB3ED26
	s_waitcnt vmcnt(31)                                        // 00000000B3A4: BF8C4F7F
	v_mfma_f32_16x16x32_fp8_fp8 v[240:243], a[48:49], a[192:193], 0// 00000000B3A8: D3F300F0 1A038130
	buffer_load_dwordx4 a[112:115], v50, s[96:99], 0 offen     // 00000000B3B0: E05C1000 80987032
	v_mfma_f32_16x16x32_fp8_fp8 v[240:243], a[50:51], a[194:195], v[240:243]// 00000000B3B8: D3F300F0 1FC38532
	v_mfma_f32_16x16x32_fp8_fp8 v[240:243], a[52:53], a[196:197], v[240:243]// 00000000B3C0: D3F300F0 1FC38934
	buffer_load_dword v43, s[20:23], 0 offen lds               // 00000000B3C8: E0511000 8005002B
	s_mul_i32 s56, s92, s64                                    // 00000000B3D0: 9238405C
	v_lshl_add_u32 v45, v0, 2, s56                             // 00000000B3D4: D1FD002D 00E10500
	s_add_u32 m0, 0xd00, s48                                   // 00000000B3DC: 807C30FF 00000D00
	v_mfma_f32_16x16x32_fp8_fp8 v[240:243], a[54:55], a[198:199], v[240:243]// 00000000B3E4: D3F300F0 1FC38D36
	v_mfma_f32_16x16x32_fp8_fp8 v[244:247], a[48:49], a[208:209], 0// 00000000B3EC: D3F300F4 1A03A130
	v_mfma_f32_16x16x32_fp8_fp8 v[244:247], a[50:51], a[210:211], v[244:247]// 00000000B3F4: D3F300F4 1FD3A532
	v_mfma_f32_16x16x32_fp8_fp8 v[244:247], a[52:53], a[212:213], v[244:247]// 00000000B3FC: D3F300F4 1FD3A934
	buffer_load_dword v44, s[20:23], 0 offen lds               // 00000000B404: E0511000 8005002C
	s_mul_i32 s56, s93, s64                                    // 00000000B40C: 9238405D
	v_lshl_add_u32 v46, v0, 2, s56                             // 00000000B410: D1FD002E 00E10500
	s_add_u32 m0, 0xe00, s48                                   // 00000000B418: 807C30FF 00000E00
	v_mfma_f32_16x16x32_fp8_fp8 v[244:247], a[54:55], a[214:215], v[244:247]// 00000000B420: D3F300F4 1FD3AD36
	v_mfma_f32_16x16x32_fp8_fp8 v[248:251], a[48:49], a[224:225], 0// 00000000B428: D3F300F8 1A03C130
	buffer_load_dwordx4 a[116:119], v50, s[96:99], 0 offen offset:1024// 00000000B430: E05C1400 80987432
	v_mfma_f32_16x16x32_fp8_fp8 v[248:251], a[50:51], a[226:227], v[248:251]// 00000000B438: D3F300F8 1FE3C532
	v_mfma_f32_16x16x32_fp8_fp8 v[248:251], a[52:53], a[228:229], v[248:251]// 00000000B440: D3F300F8 1FE3C934
	buffer_load_dword v45, s[20:23], 0 offen lds               // 00000000B448: E0511000 8005002D
	s_mul_i32 s56, s78, s64                                    // 00000000B450: 9238404E
	v_lshl_add_u32 v43, v0, 2, s56                             // 00000000B454: D1FD002B 00E10500
	s_add_u32 m0, 0xf00, s48                                   // 00000000B45C: 807C30FF 00000F00
	v_mfma_f32_16x16x32_fp8_fp8 v[248:251], a[54:55], a[230:231], v[248:251]// 00000000B464: D3F300F8 1FE3CD36
	v_mfma_f32_16x16x32_fp8_fp8 v[252:255], a[48:49], a[240:241], 0// 00000000B46C: D3F300FC 1A03E130
	v_mfma_f32_16x16x32_fp8_fp8 v[252:255], a[50:51], a[242:243], v[252:255]// 00000000B474: D3F300FC 1FF3E532
	v_mfma_f32_16x16x32_fp8_fp8 v[252:255], a[52:53], a[244:245], v[252:255]// 00000000B47C: D3F300FC 1FF3E934
	buffer_load_dword v46, s[20:23], 0 offen lds               // 00000000B484: E0511000 8005002E
	s_mul_i32 s56, s79, s64                                    // 00000000B48C: 9238404F
	v_lshl_add_u32 v44, v0, 2, s56                             // 00000000B490: D1FD002C 00E10500
	s_add_u32 m0, s48, s72                                     // 00000000B498: 807C4830
	buffer_load_dword v9, s[28:31], 0 offen lds                // 00000000B49C: E0511000 80070009
	s_add_u32 m0, m0, 0x400                                    // 00000000B4A4: 807CFF7C 00000400
	buffer_load_dword v11, s[28:31], 0 offen lds               // 00000000B4AC: E0511000 8007000B
	s_add_u32 m0, 0, s49                                       // 00000000B4B4: 807C3180
	buffer_load_dword v38, v19, s[32:35], 0 offen              // 00000000B4B8: E0501000 80082613
	v_mfma_f32_16x16x32_fp8_fp8 v[252:255], a[54:55], a[246:247], v[252:255]// 00000000B4C0: D3F300FC 1FF3ED36
	v_mul_f32_dpp v60, v37, v29 row_newbcast:0 row_mask:0xf bank_mask:0xf// 00000000B4C8: 0A783AFA FF015025
	v_mov_b32_e32 v61, v60                                     // 00000000B4D0: 7E7A033C
	v_pk_fma_f32 v[64:65], v[192:193], v[60:61], v[64:65]      // 00000000B4D4: D3B04040 1D0279C0
	v_pk_fma_f32 v[66:67], v[194:195], v[60:61], v[66:67]      // 00000000B4DC: D3B04042 1D0A79C2
	v_pk_fma_f32 v[80:81], v[208:209], v[60:61], v[80:81]      // 00000000B4E4: D3B04050 1D4279D0
	v_pk_fma_f32 v[82:83], v[210:211], v[60:61], v[82:83]      // 00000000B4EC: D3B04052 1D4A79D2
	v_mul_f32_dpp v60, v37, v29 row_newbcast:1 row_mask:0xf bank_mask:0xf// 00000000B4F4: 0A783AFA FF015125
	v_mov_b32_e32 v61, v60                                     // 00000000B4FC: 7E7A033C
	v_pk_fma_f32 v[96:97], v[224:225], v[60:61], v[96:97]      // 00000000B500: D3B04060 1D8279E0
	v_pk_fma_f32 v[98:99], v[226:227], v[60:61], v[98:99]      // 00000000B508: D3B04062 1D8A79E2
	v_pk_fma_f32 v[112:113], v[240:241], v[60:61], v[112:113]  // 00000000B510: D3B04070 1DC279F0
	v_pk_fma_f32 v[114:115], v[242:243], v[60:61], v[114:115]  // 00000000B518: D3B04072 1DCA79F2
	v_mul_f32_dpp v60, v37, v30 row_newbcast:0 row_mask:0xf bank_mask:0xf// 00000000B520: 0A783CFA FF015025
	v_mov_b32_e32 v61, v60                                     // 00000000B528: 7E7A033C
	v_pk_fma_f32 v[68:69], v[196:197], v[60:61], v[68:69]      // 00000000B52C: D3B04044 1D1279C4
	v_pk_fma_f32 v[70:71], v[198:199], v[60:61], v[70:71]      // 00000000B534: D3B04046 1D1A79C6
	v_pk_fma_f32 v[84:85], v[212:213], v[60:61], v[84:85]      // 00000000B53C: D3B04054 1D5279D4
	v_pk_fma_f32 v[86:87], v[214:215], v[60:61], v[86:87]      // 00000000B544: D3B04056 1D5A79D6
	v_mul_f32_dpp v60, v37, v30 row_newbcast:1 row_mask:0xf bank_mask:0xf// 00000000B54C: 0A783CFA FF015125
	v_mov_b32_e32 v61, v60                                     // 00000000B554: 7E7A033C
	v_pk_fma_f32 v[100:101], v[228:229], v[60:61], v[100:101]  // 00000000B558: D3B04064 1D9279E4
	v_pk_fma_f32 v[102:103], v[230:231], v[60:61], v[102:103]  // 00000000B560: D3B04066 1D9A79E6
	v_pk_fma_f32 v[116:117], v[244:245], v[60:61], v[116:117]  // 00000000B568: D3B04074 1DD279F4
	v_pk_fma_f32 v[118:119], v[246:247], v[60:61], v[118:119]  // 00000000B570: D3B04076 1DDA79F6
	v_mul_f32_dpp v60, v37, v31 row_newbcast:0 row_mask:0xf bank_mask:0xf// 00000000B578: 0A783EFA FF015025
	v_mov_b32_e32 v61, v60                                     // 00000000B580: 7E7A033C
	v_pk_fma_f32 v[72:73], v[200:201], v[60:61], v[72:73]      // 00000000B584: D3B04048 1D2279C8
	v_pk_fma_f32 v[74:75], v[202:203], v[60:61], v[74:75]      // 00000000B58C: D3B0404A 1D2A79CA
	v_pk_fma_f32 v[88:89], v[216:217], v[60:61], v[88:89]      // 00000000B594: D3B04058 1D6279D8
	v_pk_fma_f32 v[90:91], v[218:219], v[60:61], v[90:91]      // 00000000B59C: D3B0405A 1D6A79DA
	v_mul_f32_dpp v60, v37, v31 row_newbcast:1 row_mask:0xf bank_mask:0xf// 00000000B5A4: 0A783EFA FF015125
	v_mov_b32_e32 v61, v60                                     // 00000000B5AC: 7E7A033C
	v_pk_fma_f32 v[104:105], v[232:233], v[60:61], v[104:105]  // 00000000B5B0: D3B04068 1DA279E8
	v_pk_fma_f32 v[106:107], v[234:235], v[60:61], v[106:107]  // 00000000B5B8: D3B0406A 1DAA79EA
	v_pk_fma_f32 v[120:121], v[248:249], v[60:61], v[120:121]  // 00000000B5C0: D3B04078 1DE279F8
	v_pk_fma_f32 v[122:123], v[250:251], v[60:61], v[122:123]  // 00000000B5C8: D3B0407A 1DEA79FA
	v_mul_f32_dpp v60, v37, v32 row_newbcast:0 row_mask:0xf bank_mask:0xf// 00000000B5D0: 0A7840FA FF015025
	v_mov_b32_e32 v61, v60                                     // 00000000B5D8: 7E7A033C
	v_pk_fma_f32 v[76:77], v[204:205], v[60:61], v[76:77]      // 00000000B5DC: D3B0404C 1D3279CC
	v_pk_fma_f32 v[78:79], v[206:207], v[60:61], v[78:79]      // 00000000B5E4: D3B0404E 1D3A79CE
	v_pk_fma_f32 v[92:93], v[220:221], v[60:61], v[92:93]      // 00000000B5EC: D3B0405C 1D7279DC
	v_pk_fma_f32 v[94:95], v[222:223], v[60:61], v[94:95]      // 00000000B5F4: D3B0405E 1D7A79DE
	v_mul_f32_dpp v60, v37, v32 row_newbcast:1 row_mask:0xf bank_mask:0xf// 00000000B5FC: 0A7840FA FF015125
	v_mov_b32_e32 v61, v60                                     // 00000000B604: 7E7A033C
	v_pk_fma_f32 v[108:109], v[236:237], v[60:61], v[108:109]  // 00000000B608: D3B0406C 1DB279EC
	v_pk_fma_f32 v[110:111], v[238:239], v[60:61], v[110:111]  // 00000000B610: D3B0406E 1DBA79EE
	v_pk_fma_f32 v[124:125], v[252:253], v[60:61], v[124:125]  // 00000000B618: D3B0407C 1DF279FC
	v_pk_fma_f32 v[126:127], v[254:255], v[60:61], v[126:127]  // 00000000B620: D3B0407E 1DFA79FE
	s_waitcnt vmcnt(31)                                        // 00000000B628: BF8C4F7F
	v_mfma_f32_16x16x32_fp8_fp8 v[192:195], a[8:9], a[200:201], 0// 00000000B62C: D3F300C0 1A039108
	buffer_load_dwordx4 a[72:75], v47, s[96:99], 0 offen offset:2048// 00000000B634: E05C1800 8098482F
	v_mfma_f32_16x16x32_fp8_fp8 v[192:195], a[10:11], a[202:203], v[192:195]// 00000000B63C: D3F300C0 1F03950A
	v_mfma_f32_16x16x32_fp8_fp8 v[192:195], a[12:13], a[204:205], v[192:195]// 00000000B644: D3F300C0 1F03990C
	v_mfma_f32_16x16x32_fp8_fp8 v[192:195], a[14:15], a[206:207], v[192:195]// 00000000B64C: D3F300C0 1F039D0E
	v_mfma_f32_16x16x32_fp8_fp8 v[196:199], a[8:9], a[216:217], 0// 00000000B654: D3F300C4 1A03B108
	v_mfma_f32_16x16x32_fp8_fp8 v[196:199], a[10:11], a[218:219], v[196:199]// 00000000B65C: D3F300C4 1F13B50A
	v_mfma_f32_16x16x32_fp8_fp8 v[196:199], a[12:13], a[220:221], v[196:199]// 00000000B664: D3F300C4 1F13B90C
	v_mfma_f32_16x16x32_fp8_fp8 v[196:199], a[14:15], a[222:223], v[196:199]// 00000000B66C: D3F300C4 1F13BD0E
	v_mfma_f32_16x16x32_fp8_fp8 v[200:203], a[8:9], a[232:233], 0// 00000000B674: D3F300C8 1A03D108
	buffer_load_dwordx4 a[76:79], v47, s[96:99], 0 offen offset:3072// 00000000B67C: E05C1C00 80984C2F
	v_mfma_f32_16x16x32_fp8_fp8 v[200:203], a[10:11], a[234:235], v[200:203]// 00000000B684: D3F300C8 1F23D50A
	v_mfma_f32_16x16x32_fp8_fp8 v[200:203], a[12:13], a[236:237], v[200:203]// 00000000B68C: D3F300C8 1F23D90C
	v_mfma_f32_16x16x32_fp8_fp8 v[200:203], a[14:15], a[238:239], v[200:203]// 00000000B694: D3F300C8 1F23DD0E
	v_mfma_f32_16x16x32_fp8_fp8 v[204:207], a[8:9], a[248:249], 0// 00000000B69C: D3F300CC 1A03F108
	v_mfma_f32_16x16x32_fp8_fp8 v[204:207], a[10:11], a[250:251], v[204:207]// 00000000B6A4: D3F300CC 1F33F50A
	v_mfma_f32_16x16x32_fp8_fp8 v[204:207], a[12:13], a[252:253], v[204:207]// 00000000B6AC: D3F300CC 1F33F90C
	v_mfma_f32_16x16x32_fp8_fp8 v[204:207], a[14:15], a[254:255], v[204:207]// 00000000B6B4: D3F300CC 1F33FD0E
	s_waitcnt vmcnt(31)                                        // 00000000B6BC: BF8C4F7F
	v_mfma_f32_16x16x32_fp8_fp8 v[208:211], a[24:25], a[200:201], 0// 00000000B6C0: D3F300D0 1A039118
	buffer_load_dwordx4 a[88:91], v48, s[96:99], 0 offen offset:2048// 00000000B6C8: E05C1800 80985830
	v_mfma_f32_16x16x32_fp8_fp8 v[208:211], a[26:27], a[202:203], v[208:211]// 00000000B6D0: D3F300D0 1F43951A
	v_mfma_f32_16x16x32_fp8_fp8 v[208:211], a[28:29], a[204:205], v[208:211]// 00000000B6D8: D3F300D0 1F43991C
	v_mfma_f32_16x16x32_fp8_fp8 v[208:211], a[30:31], a[206:207], v[208:211]// 00000000B6E0: D3F300D0 1F439D1E
	v_mfma_f32_16x16x32_fp8_fp8 v[212:215], a[24:25], a[216:217], 0// 00000000B6E8: D3F300D4 1A03B118
	v_mfma_f32_16x16x32_fp8_fp8 v[212:215], a[26:27], a[218:219], v[212:215]// 00000000B6F0: D3F300D4 1F53B51A
	v_mfma_f32_16x16x32_fp8_fp8 v[212:215], a[28:29], a[220:221], v[212:215]// 00000000B6F8: D3F300D4 1F53B91C
	v_mfma_f32_16x16x32_fp8_fp8 v[212:215], a[30:31], a[222:223], v[212:215]// 00000000B700: D3F300D4 1F53BD1E
	v_mfma_f32_16x16x32_fp8_fp8 v[216:219], a[24:25], a[232:233], 0// 00000000B708: D3F300D8 1A03D118
	buffer_load_dwordx4 a[92:95], v48, s[96:99], 0 offen offset:3072// 00000000B710: E05C1C00 80985C30
	v_mfma_f32_16x16x32_fp8_fp8 v[216:219], a[26:27], a[234:235], v[216:219]// 00000000B718: D3F300D8 1F63D51A
	v_mfma_f32_16x16x32_fp8_fp8 v[216:219], a[28:29], a[236:237], v[216:219]// 00000000B720: D3F300D8 1F63D91C
	v_mfma_f32_16x16x32_fp8_fp8 v[216:219], a[30:31], a[238:239], v[216:219]// 00000000B728: D3F300D8 1F63DD1E
	v_mfma_f32_16x16x32_fp8_fp8 v[220:223], a[24:25], a[248:249], 0// 00000000B730: D3F300DC 1A03F118
	v_mfma_f32_16x16x32_fp8_fp8 v[220:223], a[26:27], a[250:251], v[220:223]// 00000000B738: D3F300DC 1F73F51A
	v_mfma_f32_16x16x32_fp8_fp8 v[220:223], a[28:29], a[252:253], v[220:223]// 00000000B740: D3F300DC 1F73F91C
	v_mfma_f32_16x16x32_fp8_fp8 v[220:223], a[30:31], a[254:255], v[220:223]// 00000000B748: D3F300DC 1F73FD1E
	s_waitcnt vmcnt(31)                                        // 00000000B750: BF8C4F7F
	v_mfma_f32_16x16x32_fp8_fp8 v[224:227], a[40:41], a[200:201], 0// 00000000B754: D3F300E0 1A039128
	buffer_load_dwordx4 a[104:107], v49, s[96:99], 0 offen offset:2048// 00000000B75C: E05C1800 80986831
	v_mfma_f32_16x16x32_fp8_fp8 v[224:227], a[42:43], a[202:203], v[224:227]// 00000000B764: D3F300E0 1F83952A
	v_mfma_f32_16x16x32_fp8_fp8 v[224:227], a[44:45], a[204:205], v[224:227]// 00000000B76C: D3F300E0 1F83992C
	v_mfma_f32_16x16x32_fp8_fp8 v[224:227], a[46:47], a[206:207], v[224:227]// 00000000B774: D3F300E0 1F839D2E
	v_mfma_f32_16x16x32_fp8_fp8 v[228:231], a[40:41], a[216:217], 0// 00000000B77C: D3F300E4 1A03B128
	v_mfma_f32_16x16x32_fp8_fp8 v[228:231], a[42:43], a[218:219], v[228:231]// 00000000B784: D3F300E4 1F93B52A
	v_mfma_f32_16x16x32_fp8_fp8 v[228:231], a[44:45], a[220:221], v[228:231]// 00000000B78C: D3F300E4 1F93B92C
	v_mfma_f32_16x16x32_fp8_fp8 v[228:231], a[46:47], a[222:223], v[228:231]// 00000000B794: D3F300E4 1F93BD2E
	v_mfma_f32_16x16x32_fp8_fp8 v[232:235], a[40:41], a[232:233], 0// 00000000B79C: D3F300E8 1A03D128
	buffer_load_dwordx4 a[108:111], v49, s[96:99], 0 offen offset:3072// 00000000B7A4: E05C1C00 80986C31
	v_mfma_f32_16x16x32_fp8_fp8 v[232:235], a[42:43], a[234:235], v[232:235]// 00000000B7AC: D3F300E8 1FA3D52A
	v_mfma_f32_16x16x32_fp8_fp8 v[232:235], a[44:45], a[236:237], v[232:235]// 00000000B7B4: D3F300E8 1FA3D92C
	v_mfma_f32_16x16x32_fp8_fp8 v[232:235], a[46:47], a[238:239], v[232:235]// 00000000B7BC: D3F300E8 1FA3DD2E
	v_mfma_f32_16x16x32_fp8_fp8 v[236:239], a[40:41], a[248:249], 0// 00000000B7C4: D3F300EC 1A03F128
	v_mfma_f32_16x16x32_fp8_fp8 v[236:239], a[42:43], a[250:251], v[236:239]// 00000000B7CC: D3F300EC 1FB3F52A
	v_mfma_f32_16x16x32_fp8_fp8 v[236:239], a[44:45], a[252:253], v[236:239]// 00000000B7D4: D3F300EC 1FB3F92C
	v_mfma_f32_16x16x32_fp8_fp8 v[236:239], a[46:47], a[254:255], v[236:239]// 00000000B7DC: D3F300EC 1FB3FD2E
	s_waitcnt vmcnt(31)                                        // 00000000B7E4: BF8C4F7F
	v_mfma_f32_16x16x32_fp8_fp8 v[240:243], a[56:57], a[200:201], 0// 00000000B7E8: D3F300F0 1A039138
	buffer_load_dwordx4 a[120:123], v50, s[96:99], 0 offen offset:2048// 00000000B7F0: E05C1800 80987832
	v_mfma_f32_16x16x32_fp8_fp8 v[240:243], a[58:59], a[202:203], v[240:243]// 00000000B7F8: D3F300F0 1FC3953A
	v_mfma_f32_16x16x32_fp8_fp8 v[240:243], a[60:61], a[204:205], v[240:243]// 00000000B800: D3F300F0 1FC3993C
	v_mfma_f32_16x16x32_fp8_fp8 v[240:243], a[62:63], a[206:207], v[240:243]// 00000000B808: D3F300F0 1FC39D3E
	v_mfma_f32_16x16x32_fp8_fp8 v[244:247], a[56:57], a[216:217], 0// 00000000B810: D3F300F4 1A03B138
	v_mfma_f32_16x16x32_fp8_fp8 v[244:247], a[58:59], a[218:219], v[244:247]// 00000000B818: D3F300F4 1FD3B53A
	v_mfma_f32_16x16x32_fp8_fp8 v[244:247], a[60:61], a[220:221], v[244:247]// 00000000B820: D3F300F4 1FD3B93C
	v_mfma_f32_16x16x32_fp8_fp8 v[244:247], a[62:63], a[222:223], v[244:247]// 00000000B828: D3F300F4 1FD3BD3E
	v_mfma_f32_16x16x32_fp8_fp8 v[248:251], a[56:57], a[232:233], 0// 00000000B830: D3F300F8 1A03D138
	buffer_load_dwordx4 a[124:127], v50, s[96:99], 0 offen offset:3072// 00000000B838: E05C1C00 80987C32
	v_mfma_f32_16x16x32_fp8_fp8 v[248:251], a[58:59], a[234:235], v[248:251]// 00000000B840: D3F300F8 1FE3D53A
	v_mfma_f32_16x16x32_fp8_fp8 v[248:251], a[60:61], a[236:237], v[248:251]// 00000000B848: D3F300F8 1FE3D93C
	v_mfma_f32_16x16x32_fp8_fp8 v[248:251], a[62:63], a[238:239], v[248:251]// 00000000B850: D3F300F8 1FE3DD3E
	v_mfma_f32_16x16x32_fp8_fp8 v[252:255], a[56:57], a[248:249], 0// 00000000B858: D3F300FC 1A03F138
	v_mfma_f32_16x16x32_fp8_fp8 v[252:255], a[58:59], a[250:251], v[252:255]// 00000000B860: D3F300FC 1FF3F53A
	v_mfma_f32_16x16x32_fp8_fp8 v[252:255], a[60:61], a[252:253], v[252:255]// 00000000B868: D3F300FC 1FF3F93C
	v_mfma_f32_16x16x32_fp8_fp8 v[252:255], a[62:63], a[254:255], v[252:255]// 00000000B870: D3F300FC 1FF3FD3E
	v_mul_f32_dpp v60, v37, v33 row_newbcast:2 row_mask:0xf bank_mask:0xf// 00000000B878: 0A7842FA FF015225
	v_mov_b32_e32 v61, v60                                     // 00000000B880: 7E7A033C
	v_pk_fma_f32 v[64:65], v[192:193], v[60:61], v[64:65]      // 00000000B884: D3B04040 1D0279C0
	v_pk_fma_f32 v[66:67], v[194:195], v[60:61], v[66:67]      // 00000000B88C: D3B04042 1D0A79C2
	v_pk_fma_f32 v[80:81], v[208:209], v[60:61], v[80:81]      // 00000000B894: D3B04050 1D4279D0
	v_pk_fma_f32 v[82:83], v[210:211], v[60:61], v[82:83]      // 00000000B89C: D3B04052 1D4A79D2
	v_mul_f32_dpp v60, v37, v33 row_newbcast:3 row_mask:0xf bank_mask:0xf// 00000000B8A4: 0A7842FA FF015325
	v_mov_b32_e32 v61, v60                                     // 00000000B8AC: 7E7A033C
	v_pk_fma_f32 v[96:97], v[224:225], v[60:61], v[96:97]      // 00000000B8B0: D3B04060 1D8279E0
	v_pk_fma_f32 v[98:99], v[226:227], v[60:61], v[98:99]      // 00000000B8B8: D3B04062 1D8A79E2
	v_pk_fma_f32 v[112:113], v[240:241], v[60:61], v[112:113]  // 00000000B8C0: D3B04070 1DC279F0
	v_pk_fma_f32 v[114:115], v[242:243], v[60:61], v[114:115]  // 00000000B8C8: D3B04072 1DCA79F2
	v_mul_f32_dpp v60, v37, v34 row_newbcast:2 row_mask:0xf bank_mask:0xf// 00000000B8D0: 0A7844FA FF015225
	v_mov_b32_e32 v61, v60                                     // 00000000B8D8: 7E7A033C
	v_pk_fma_f32 v[68:69], v[196:197], v[60:61], v[68:69]      // 00000000B8DC: D3B04044 1D1279C4
	v_pk_fma_f32 v[70:71], v[198:199], v[60:61], v[70:71]      // 00000000B8E4: D3B04046 1D1A79C6
	v_pk_fma_f32 v[84:85], v[212:213], v[60:61], v[84:85]      // 00000000B8EC: D3B04054 1D5279D4
	v_pk_fma_f32 v[86:87], v[214:215], v[60:61], v[86:87]      // 00000000B8F4: D3B04056 1D5A79D6
	v_mul_f32_dpp v60, v37, v34 row_newbcast:3 row_mask:0xf bank_mask:0xf// 00000000B8FC: 0A7844FA FF015325
	v_mov_b32_e32 v61, v60                                     // 00000000B904: 7E7A033C
	v_pk_fma_f32 v[100:101], v[228:229], v[60:61], v[100:101]  // 00000000B908: D3B04064 1D9279E4
	v_pk_fma_f32 v[102:103], v[230:231], v[60:61], v[102:103]  // 00000000B910: D3B04066 1D9A79E6
	v_pk_fma_f32 v[116:117], v[244:245], v[60:61], v[116:117]  // 00000000B918: D3B04074 1DD279F4
	v_pk_fma_f32 v[118:119], v[246:247], v[60:61], v[118:119]  // 00000000B920: D3B04076 1DDA79F6
	v_mul_f32_dpp v60, v37, v35 row_newbcast:2 row_mask:0xf bank_mask:0xf// 00000000B928: 0A7846FA FF015225
	v_mov_b32_e32 v61, v60                                     // 00000000B930: 7E7A033C
	v_pk_fma_f32 v[72:73], v[200:201], v[60:61], v[72:73]      // 00000000B934: D3B04048 1D2279C8
	v_pk_fma_f32 v[74:75], v[202:203], v[60:61], v[74:75]      // 00000000B93C: D3B0404A 1D2A79CA
	v_pk_fma_f32 v[88:89], v[216:217], v[60:61], v[88:89]      // 00000000B944: D3B04058 1D6279D8
	v_pk_fma_f32 v[90:91], v[218:219], v[60:61], v[90:91]      // 00000000B94C: D3B0405A 1D6A79DA
	v_mul_f32_dpp v60, v37, v35 row_newbcast:3 row_mask:0xf bank_mask:0xf// 00000000B954: 0A7846FA FF015325
	v_mov_b32_e32 v61, v60                                     // 00000000B95C: 7E7A033C
	v_pk_fma_f32 v[104:105], v[232:233], v[60:61], v[104:105]  // 00000000B960: D3B04068 1DA279E8
	v_pk_fma_f32 v[106:107], v[234:235], v[60:61], v[106:107]  // 00000000B968: D3B0406A 1DAA79EA
	v_pk_fma_f32 v[120:121], v[248:249], v[60:61], v[120:121]  // 00000000B970: D3B04078 1DE279F8
	v_pk_fma_f32 v[122:123], v[250:251], v[60:61], v[122:123]  // 00000000B978: D3B0407A 1DEA79FA
	v_mul_f32_dpp v60, v37, v36 row_newbcast:2 row_mask:0xf bank_mask:0xf// 00000000B980: 0A7848FA FF015225
	v_mov_b32_e32 v61, v60                                     // 00000000B988: 7E7A033C
	v_pk_fma_f32 v[76:77], v[204:205], v[60:61], v[76:77]      // 00000000B98C: D3B0404C 1D3279CC
	v_pk_fma_f32 v[78:79], v[206:207], v[60:61], v[78:79]      // 00000000B994: D3B0404E 1D3A79CE
	v_pk_fma_f32 v[92:93], v[220:221], v[60:61], v[92:93]      // 00000000B99C: D3B0405C 1D7279DC
	v_pk_fma_f32 v[94:95], v[222:223], v[60:61], v[94:95]      // 00000000B9A4: D3B0405E 1D7A79DE
	v_mul_f32_dpp v60, v37, v36 row_newbcast:3 row_mask:0xf bank_mask:0xf// 00000000B9AC: 0A7848FA FF015325
	v_mov_b32_e32 v61, v60                                     // 00000000B9B4: 7E7A033C
	v_pk_fma_f32 v[108:109], v[236:237], v[60:61], v[108:109]  // 00000000B9B8: D3B0406C 1DB279EC
	v_pk_fma_f32 v[110:111], v[238:239], v[60:61], v[110:111]  // 00000000B9C0: D3B0406E 1DBA79EE
	v_pk_fma_f32 v[124:125], v[252:253], v[60:61], v[124:125]  // 00000000B9C8: D3B0407C 1DF279FC
	v_pk_fma_f32 v[126:127], v[254:255], v[60:61], v[126:127]  // 00000000B9D0: D3B0407E 1DFA79FE
	s_add_u32 s56, 0x100, s76                                  // 00000000B9D8: 80384CFF 00000100
	s_cmp_lt_u32 s56, s77                                      // 00000000B9E0: BF0A4D38
	s_cselect_b32 s4, s4, 0                                    // 00000000B9E4: 85048004
	s_add_u32 s32, s4, s32                                     // 00000000B9E8: 80202004
	s_addc_u32 s33, 0, s33                                     // 00000000B9EC: 82212180
	s_waitcnt vmcnt(8)                                         // 00000000B9F0: BF8C0F78
	s_barrier                                                  // 00000000B9F4: BF8A0000
	v_mfma_f32_16x16x32_fp8_fp8 v[192:195], a[64:65], a[192:193], 0// 00000000B9F8: D3F300C0 1A038140
	buffer_load_dwordx4 a[0:3], v47, s[24:27], 0 offen         // 00000000BA00: E05C1000 8086002F
	v_mfma_f32_16x16x32_fp8_fp8 v[192:195], a[66:67], a[194:195], v[192:195]// 00000000BA08: D3F300C0 1F038542
	v_mfma_f32_16x16x32_fp8_fp8 v[192:195], a[68:69], a[196:197], v[192:195]// 00000000BA10: D3F300C0 1F038944
	buffer_load_dword v37, v17, s[32:35], 0 offen              // 00000000BA18: E0501000 80082511
	v_mfma_f32_16x16x32_fp8_fp8 v[192:195], a[70:71], a[198:199], v[192:195]// 00000000BA20: D3F300C0 1F038D46
	v_mfma_f32_16x16x32_fp8_fp8 v[196:199], a[64:65], a[208:209], 0// 00000000BA28: D3F300C4 1A03A140
	v_mfma_f32_16x16x32_fp8_fp8 v[196:199], a[66:67], a[210:211], v[196:199]// 00000000BA30: D3F300C4 1F13A542
	v_mfma_f32_16x16x32_fp8_fp8 v[196:199], a[68:69], a[212:213], v[196:199]// 00000000BA38: D3F300C4 1F13A944
	v_mfma_f32_16x16x32_fp8_fp8 v[196:199], a[70:71], a[214:215], v[196:199]// 00000000BA40: D3F300C4 1F13AD46
	v_mfma_f32_16x16x32_fp8_fp8 v[200:203], a[64:65], a[224:225], 0// 00000000BA48: D3F300C8 1A03C140
	buffer_load_dwordx4 a[4:7], v47, s[24:27], 0 offen offset:1024// 00000000BA50: E05C1400 8086042F
	v_mfma_f32_16x16x32_fp8_fp8 v[200:203], a[66:67], a[226:227], v[200:203]// 00000000BA58: D3F300C8 1F23C542
	v_mfma_f32_16x16x32_fp8_fp8 v[200:203], a[68:69], a[228:229], v[200:203]// 00000000BA60: D3F300C8 1F23C944
	v_mfma_f32_16x16x32_fp8_fp8 v[200:203], a[70:71], a[230:231], v[200:203]// 00000000BA68: D3F300C8 1F23CD46
	v_mfma_f32_16x16x32_fp8_fp8 v[204:207], a[64:65], a[240:241], 0// 00000000BA70: D3F300CC 1A03E140
	v_mfma_f32_16x16x32_fp8_fp8 v[204:207], a[66:67], a[242:243], v[204:207]// 00000000BA78: D3F300CC 1F33E542
	v_mfma_f32_16x16x32_fp8_fp8 v[204:207], a[68:69], a[244:245], v[204:207]// 00000000BA80: D3F300CC 1F33E944
	v_mfma_f32_16x16x32_fp8_fp8 v[204:207], a[70:71], a[246:247], v[204:207]// 00000000BA88: D3F300CC 1F33ED46
	v_mfma_f32_16x16x32_fp8_fp8 v[208:211], a[80:81], a[192:193], 0// 00000000BA90: D3F300D0 1A038150
	buffer_load_dwordx4 a[16:19], v48, s[24:27], 0 offen       // 00000000BA98: E05C1000 80861030
	v_mfma_f32_16x16x32_fp8_fp8 v[208:211], a[82:83], a[194:195], v[208:211]// 00000000BAA0: D3F300D0 1F438552
	v_mfma_f32_16x16x32_fp8_fp8 v[208:211], a[84:85], a[196:197], v[208:211]// 00000000BAA8: D3F300D0 1F438954
	v_mfma_f32_16x16x32_fp8_fp8 v[208:211], a[86:87], a[198:199], v[208:211]// 00000000BAB0: D3F300D0 1F438D56
	v_mfma_f32_16x16x32_fp8_fp8 v[212:215], a[80:81], a[208:209], 0// 00000000BAB8: D3F300D4 1A03A150
	v_mfma_f32_16x16x32_fp8_fp8 v[212:215], a[82:83], a[210:211], v[212:215]// 00000000BAC0: D3F300D4 1F53A552
	v_mfma_f32_16x16x32_fp8_fp8 v[212:215], a[84:85], a[212:213], v[212:215]// 00000000BAC8: D3F300D4 1F53A954
	v_mfma_f32_16x16x32_fp8_fp8 v[212:215], a[86:87], a[214:215], v[212:215]// 00000000BAD0: D3F300D4 1F53AD56
	v_mfma_f32_16x16x32_fp8_fp8 v[216:219], a[80:81], a[224:225], 0// 00000000BAD8: D3F300D8 1A03C150
	buffer_load_dwordx4 a[20:23], v48, s[24:27], 0 offen offset:1024// 00000000BAE0: E05C1400 80861430
	v_mfma_f32_16x16x32_fp8_fp8 v[216:219], a[82:83], a[226:227], v[216:219]// 00000000BAE8: D3F300D8 1F63C552
	v_mfma_f32_16x16x32_fp8_fp8 v[216:219], a[84:85], a[228:229], v[216:219]// 00000000BAF0: D3F300D8 1F63C954
	v_mfma_f32_16x16x32_fp8_fp8 v[216:219], a[86:87], a[230:231], v[216:219]// 00000000BAF8: D3F300D8 1F63CD56
	v_mfma_f32_16x16x32_fp8_fp8 v[220:223], a[80:81], a[240:241], 0// 00000000BB00: D3F300DC 1A03E150
	v_mfma_f32_16x16x32_fp8_fp8 v[220:223], a[82:83], a[242:243], v[220:223]// 00000000BB08: D3F300DC 1F73E552
	v_mfma_f32_16x16x32_fp8_fp8 v[220:223], a[84:85], a[244:245], v[220:223]// 00000000BB10: D3F300DC 1F73E954
	v_mfma_f32_16x16x32_fp8_fp8 v[220:223], a[86:87], a[246:247], v[220:223]// 00000000BB18: D3F300DC 1F73ED56
	s_waitcnt vmcnt(13)                                        // 00000000BB20: BF8C0F7D
	v_mfma_f32_16x16x32_fp8_fp8 v[224:227], a[96:97], a[192:193], 0// 00000000BB24: D3F300E0 1A038160
	buffer_load_dwordx4 a[32:35], v49, s[24:27], 0 offen       // 00000000BB2C: E05C1000 80862031
	v_mfma_f32_16x16x32_fp8_fp8 v[224:227], a[98:99], a[194:195], v[224:227]// 00000000BB34: D3F300E0 1F838562
	v_mfma_f32_16x16x32_fp8_fp8 v[224:227], a[100:101], a[196:197], v[224:227]// 00000000BB3C: D3F300E0 1F838964
	ds_read_b128 a[128:131], v2                                // 00000000BB44: DBFE0000 80000002
	ds_read_b128 a[132:135], v2 offset:64                      // 00000000BB4C: DBFE0040 84000002
	ds_read_b32 v21, v3 offset:16512                           // 00000000BB54: D86C4080 15000003
	ds_read_b32 v22, v3 offset:16768                           // 00000000BB5C: D86C4180 16000003
	v_mfma_f32_16x16x32_fp8_fp8 v[224:227], a[102:103], a[198:199], v[224:227]// 00000000BB64: D3F300E0 1F838D66
	v_mfma_f32_16x16x32_fp8_fp8 v[228:231], a[96:97], a[208:209], 0// 00000000BB6C: D3F300E4 1A03A160
	v_mfma_f32_16x16x32_fp8_fp8 v[228:231], a[98:99], a[210:211], v[228:231]// 00000000BB74: D3F300E4 1F93A562
	v_mfma_f32_16x16x32_fp8_fp8 v[228:231], a[100:101], a[212:213], v[228:231]// 00000000BB7C: D3F300E4 1F93A964
	ds_read_b128 a[136:139], v2 offset:128                     // 00000000BB84: DBFE0080 88000002
	ds_read_b128 a[140:143], v2 offset:192                     // 00000000BB8C: DBFE00C0 8C000002
	ds_read_b32 v23, v3 offset:17536                           // 00000000BB94: D86C4480 17000003
	ds_read_b32 v24, v3 offset:17792                           // 00000000BB9C: D86C4580 18000003
	v_mfma_f32_16x16x32_fp8_fp8 v[228:231], a[102:103], a[214:215], v[228:231]// 00000000BBA4: D3F300E4 1F93AD66
	v_mfma_f32_16x16x32_fp8_fp8 v[232:235], a[96:97], a[224:225], 0// 00000000BBAC: D3F300E8 1A03C160
	buffer_load_dwordx4 a[36:39], v49, s[24:27], 0 offen offset:1024// 00000000BBB4: E05C1400 80862431
	v_mfma_f32_16x16x32_fp8_fp8 v[232:235], a[98:99], a[226:227], v[232:235]// 00000000BBBC: D3F300E8 1FA3C562
	v_mfma_f32_16x16x32_fp8_fp8 v[232:235], a[100:101], a[228:229], v[232:235]// 00000000BBC4: D3F300E8 1FA3C964
	ds_read_b128 a[144:147], v2 offset:1024                    // 00000000BBCC: DBFE0400 90000002
	ds_read_b128 a[148:151], v2 offset:1088                    // 00000000BBD4: DBFE0440 94000002
	ds_read_b32 v25, v3 offset:17024                           // 00000000BBDC: D86C4280 19000003
	ds_read_b32 v26, v3 offset:17280                           // 00000000BBE4: D86C4380 1A000003
	v_mfma_f32_16x16x32_fp8_fp8 v[232:235], a[102:103], a[230:231], v[232:235]// 00000000BBEC: D3F300E8 1FA3CD66
	v_mfma_f32_16x16x32_fp8_fp8 v[236:239], a[96:97], a[240:241], 0// 00000000BBF4: D3F300EC 1A03E160
	v_mfma_f32_16x16x32_fp8_fp8 v[236:239], a[98:99], a[242:243], v[236:239]// 00000000BBFC: D3F300EC 1FB3E562
	v_mfma_f32_16x16x32_fp8_fp8 v[236:239], a[100:101], a[244:245], v[236:239]// 00000000BC04: D3F300EC 1FB3E964
	ds_read_b128 a[152:155], v2 offset:1152                    // 00000000BC0C: DBFE0480 98000002
	ds_read_b128 a[156:159], v2 offset:1216                    // 00000000BC14: DBFE04C0 9C000002
	ds_read_b32 v27, v3 offset:18048                           // 00000000BC1C: D86C4680 1B000003
	ds_read_b32 v28, v3 offset:18304                           // 00000000BC24: D86C4780 1C000003
	v_mfma_f32_16x16x32_fp8_fp8 v[236:239], a[102:103], a[246:247], v[236:239]// 00000000BC2C: D3F300EC 1FB3ED66
	s_waitcnt vmcnt(13)                                        // 00000000BC34: BF8C0F7D
	v_mfma_f32_16x16x32_fp8_fp8 v[240:243], a[112:113], a[192:193], 0// 00000000BC38: D3F300F0 1A038170
	buffer_load_dwordx4 a[48:51], v50, s[24:27], 0 offen       // 00000000BC40: E05C1000 80863032
	v_mfma_f32_16x16x32_fp8_fp8 v[240:243], a[114:115], a[194:195], v[240:243]// 00000000BC48: D3F300F0 1FC38572
	v_mfma_f32_16x16x32_fp8_fp8 v[240:243], a[116:117], a[196:197], v[240:243]// 00000000BC50: D3F300F0 1FC38974
	ds_read_b128 a[160:163], v2 offset:2048                    // 00000000BC58: DBFE0800 A0000002
	ds_read_b128 a[164:167], v2 offset:2112                    // 00000000BC60: DBFE0840 A4000002
	v_mfma_f32_16x16x32_fp8_fp8 v[240:243], a[118:119], a[198:199], v[240:243]// 00000000BC68: D3F300F0 1FC38D76
	v_mfma_f32_16x16x32_fp8_fp8 v[244:247], a[112:113], a[208:209], 0// 00000000BC70: D3F300F4 1A03A170
	v_mfma_f32_16x16x32_fp8_fp8 v[244:247], a[114:115], a[210:211], v[244:247]// 00000000BC78: D3F300F4 1FD3A572
	v_mfma_f32_16x16x32_fp8_fp8 v[244:247], a[116:117], a[212:213], v[244:247]// 00000000BC80: D3F300F4 1FD3A974
	ds_read_b128 a[168:171], v2 offset:2176                    // 00000000BC88: DBFE0880 A8000002
	ds_read_b128 a[172:175], v2 offset:2240                    // 00000000BC90: DBFE08C0 AC000002
	v_mfma_f32_16x16x32_fp8_fp8 v[244:247], a[118:119], a[214:215], v[244:247]// 00000000BC98: D3F300F4 1FD3AD76
	v_mfma_f32_16x16x32_fp8_fp8 v[248:251], a[112:113], a[224:225], 0// 00000000BCA0: D3F300F8 1A03C170
	buffer_load_dwordx4 a[52:55], v50, s[24:27], 0 offen offset:1024// 00000000BCA8: E05C1400 80863432
	v_mfma_f32_16x16x32_fp8_fp8 v[248:251], a[114:115], a[226:227], v[248:251]// 00000000BCB0: D3F300F8 1FE3C572
	v_mfma_f32_16x16x32_fp8_fp8 v[248:251], a[116:117], a[228:229], v[248:251]// 00000000BCB8: D3F300F8 1FE3C974
	ds_read_b128 a[176:179], v2 offset:3072                    // 00000000BCC0: DBFE0C00 B0000002
	ds_read_b128 a[180:183], v2 offset:3136                    // 00000000BCC8: DBFE0C40 B4000002
	v_mfma_f32_16x16x32_fp8_fp8 v[248:251], a[118:119], a[230:231], v[248:251]// 00000000BCD0: D3F300F8 1FE3CD76
	v_mfma_f32_16x16x32_fp8_fp8 v[252:255], a[112:113], a[240:241], 0// 00000000BCD8: D3F300FC 1A03E170
	v_mfma_f32_16x16x32_fp8_fp8 v[252:255], a[114:115], a[242:243], v[252:255]// 00000000BCE0: D3F300FC 1FF3E572
	v_mfma_f32_16x16x32_fp8_fp8 v[252:255], a[116:117], a[244:245], v[252:255]// 00000000BCE8: D3F300FC 1FF3E974
	ds_read_b128 a[184:187], v2 offset:3200                    // 00000000BCF0: DBFE0C80 B8000002
	ds_read_b128 a[188:191], v2 offset:3264                    // 00000000BCF8: DBFE0CC0 BC000002
	v_mfma_f32_16x16x32_fp8_fp8 v[252:255], a[118:119], a[246:247], v[252:255]// 00000000BD00: D3F300FC 1FF3ED76
	v_mul_f32_dpp v60, v38, v29 row_newbcast:0 row_mask:0xf bank_mask:0xf// 00000000BD08: 0A783AFA FF015026
	v_mov_b32_e32 v61, v60                                     // 00000000BD10: 7E7A033C
	v_pk_fma_f32 v[128:129], v[192:193], v[60:61], v[128:129]  // 00000000BD14: D3B04080 1E0279C0
	v_pk_fma_f32 v[130:131], v[194:195], v[60:61], v[130:131]  // 00000000BD1C: D3B04082 1E0A79C2
	v_pk_fma_f32 v[144:145], v[208:209], v[60:61], v[144:145]  // 00000000BD24: D3B04090 1E4279D0
	v_pk_fma_f32 v[146:147], v[210:211], v[60:61], v[146:147]  // 00000000BD2C: D3B04092 1E4A79D2
	v_mul_f32_dpp v60, v38, v29 row_newbcast:1 row_mask:0xf bank_mask:0xf// 00000000BD34: 0A783AFA FF015126
	v_mov_b32_e32 v61, v60                                     // 00000000BD3C: 7E7A033C
	v_pk_fma_f32 v[160:161], v[224:225], v[60:61], v[160:161]  // 00000000BD40: D3B040A0 1E8279E0
	v_pk_fma_f32 v[162:163], v[226:227], v[60:61], v[162:163]  // 00000000BD48: D3B040A2 1E8A79E2
	v_pk_fma_f32 v[176:177], v[240:241], v[60:61], v[176:177]  // 00000000BD50: D3B040B0 1EC279F0
	v_pk_fma_f32 v[178:179], v[242:243], v[60:61], v[178:179]  // 00000000BD58: D3B040B2 1ECA79F2
	v_mul_f32_dpp v60, v38, v30 row_newbcast:0 row_mask:0xf bank_mask:0xf// 00000000BD60: 0A783CFA FF015026
	v_mov_b32_e32 v61, v60                                     // 00000000BD68: 7E7A033C
	v_pk_fma_f32 v[132:133], v[196:197], v[60:61], v[132:133]  // 00000000BD6C: D3B04084 1E1279C4
	v_pk_fma_f32 v[134:135], v[198:199], v[60:61], v[134:135]  // 00000000BD74: D3B04086 1E1A79C6
	v_pk_fma_f32 v[148:149], v[212:213], v[60:61], v[148:149]  // 00000000BD7C: D3B04094 1E5279D4
	v_pk_fma_f32 v[150:151], v[214:215], v[60:61], v[150:151]  // 00000000BD84: D3B04096 1E5A79D6
	v_mul_f32_dpp v60, v38, v30 row_newbcast:1 row_mask:0xf bank_mask:0xf// 00000000BD8C: 0A783CFA FF015126
	v_mov_b32_e32 v61, v60                                     // 00000000BD94: 7E7A033C
	v_pk_fma_f32 v[164:165], v[228:229], v[60:61], v[164:165]  // 00000000BD98: D3B040A4 1E9279E4
	v_pk_fma_f32 v[166:167], v[230:231], v[60:61], v[166:167]  // 00000000BDA0: D3B040A6 1E9A79E6
	v_pk_fma_f32 v[180:181], v[244:245], v[60:61], v[180:181]  // 00000000BDA8: D3B040B4 1ED279F4
	v_pk_fma_f32 v[182:183], v[246:247], v[60:61], v[182:183]  // 00000000BDB0: D3B040B6 1EDA79F6
	v_mul_f32_dpp v60, v38, v31 row_newbcast:0 row_mask:0xf bank_mask:0xf// 00000000BDB8: 0A783EFA FF015026
	v_mov_b32_e32 v61, v60                                     // 00000000BDC0: 7E7A033C
	v_pk_fma_f32 v[136:137], v[200:201], v[60:61], v[136:137]  // 00000000BDC4: D3B04088 1E2279C8
	v_pk_fma_f32 v[138:139], v[202:203], v[60:61], v[138:139]  // 00000000BDCC: D3B0408A 1E2A79CA
	v_pk_fma_f32 v[152:153], v[216:217], v[60:61], v[152:153]  // 00000000BDD4: D3B04098 1E6279D8
	v_pk_fma_f32 v[154:155], v[218:219], v[60:61], v[154:155]  // 00000000BDDC: D3B0409A 1E6A79DA
	v_mul_f32_dpp v60, v38, v31 row_newbcast:1 row_mask:0xf bank_mask:0xf// 00000000BDE4: 0A783EFA FF015126
	v_mov_b32_e32 v61, v60                                     // 00000000BDEC: 7E7A033C
	v_pk_fma_f32 v[168:169], v[232:233], v[60:61], v[168:169]  // 00000000BDF0: D3B040A8 1EA279E8
	v_pk_fma_f32 v[170:171], v[234:235], v[60:61], v[170:171]  // 00000000BDF8: D3B040AA 1EAA79EA
	v_pk_fma_f32 v[184:185], v[248:249], v[60:61], v[184:185]  // 00000000BE00: D3B040B8 1EE279F8
	v_pk_fma_f32 v[186:187], v[250:251], v[60:61], v[186:187]  // 00000000BE08: D3B040BA 1EEA79FA
	v_mul_f32_dpp v60, v38, v32 row_newbcast:0 row_mask:0xf bank_mask:0xf// 00000000BE10: 0A7840FA FF015026
	v_mov_b32_e32 v61, v60                                     // 00000000BE18: 7E7A033C
	v_pk_fma_f32 v[140:141], v[204:205], v[60:61], v[140:141]  // 00000000BE1C: D3B0408C 1E3279CC
	v_pk_fma_f32 v[142:143], v[206:207], v[60:61], v[142:143]  // 00000000BE24: D3B0408E 1E3A79CE
	v_pk_fma_f32 v[156:157], v[220:221], v[60:61], v[156:157]  // 00000000BE2C: D3B0409C 1E7279DC
	v_pk_fma_f32 v[158:159], v[222:223], v[60:61], v[158:159]  // 00000000BE34: D3B0409E 1E7A79DE
	v_mul_f32_dpp v60, v38, v32 row_newbcast:1 row_mask:0xf bank_mask:0xf// 00000000BE3C: 0A7840FA FF015126
	v_mov_b32_e32 v61, v60                                     // 00000000BE44: 7E7A033C
	v_pk_fma_f32 v[172:173], v[236:237], v[60:61], v[172:173]  // 00000000BE48: D3B040AC 1EB279EC
	v_pk_fma_f32 v[174:175], v[238:239], v[60:61], v[174:175]  // 00000000BE50: D3B040AE 1EBA79EE
	v_pk_fma_f32 v[188:189], v[252:253], v[60:61], v[188:189]  // 00000000BE58: D3B040BC 1EF279FC
	v_pk_fma_f32 v[190:191], v[254:255], v[60:61], v[190:191]  // 00000000BE60: D3B040BE 1EFA79FE
	s_waitcnt vmcnt(13)                                        // 00000000BE68: BF8C0F7D
	v_mfma_f32_16x16x32_fp8_fp8 v[192:195], a[72:73], a[200:201], 0// 00000000BE6C: D3F300C0 1A039148
	buffer_load_dwordx4 a[8:11], v47, s[24:27], 0 offen offset:2048// 00000000BE74: E05C1800 8086082F
	v_mfma_f32_16x16x32_fp8_fp8 v[192:195], a[74:75], a[202:203], v[192:195]// 00000000BE7C: D3F300C0 1F03954A
	v_mfma_f32_16x16x32_fp8_fp8 v[192:195], a[76:77], a[204:205], v[192:195]// 00000000BE84: D3F300C0 1F03994C
	v_mfma_f32_16x16x32_fp8_fp8 v[192:195], a[78:79], a[206:207], v[192:195]// 00000000BE8C: D3F300C0 1F039D4E
	v_mfma_f32_16x16x32_fp8_fp8 v[196:199], a[72:73], a[216:217], 0// 00000000BE94: D3F300C4 1A03B148
	v_mfma_f32_16x16x32_fp8_fp8 v[196:199], a[74:75], a[218:219], v[196:199]// 00000000BE9C: D3F300C4 1F13B54A
	v_mfma_f32_16x16x32_fp8_fp8 v[196:199], a[76:77], a[220:221], v[196:199]// 00000000BEA4: D3F300C4 1F13B94C
	v_mfma_f32_16x16x32_fp8_fp8 v[196:199], a[78:79], a[222:223], v[196:199]// 00000000BEAC: D3F300C4 1F13BD4E
	v_mfma_f32_16x16x32_fp8_fp8 v[200:203], a[72:73], a[232:233], 0// 00000000BEB4: D3F300C8 1A03D148
	buffer_load_dwordx4 a[12:15], v47, s[24:27], 0 offen offset:3072// 00000000BEBC: E05C1C00 80860C2F
	v_mfma_f32_16x16x32_fp8_fp8 v[200:203], a[74:75], a[234:235], v[200:203]// 00000000BEC4: D3F300C8 1F23D54A
	v_mfma_f32_16x16x32_fp8_fp8 v[200:203], a[76:77], a[236:237], v[200:203]// 00000000BECC: D3F300C8 1F23D94C
	v_mfma_f32_16x16x32_fp8_fp8 v[200:203], a[78:79], a[238:239], v[200:203]// 00000000BED4: D3F300C8 1F23DD4E
	v_mfma_f32_16x16x32_fp8_fp8 v[204:207], a[72:73], a[248:249], 0// 00000000BEDC: D3F300CC 1A03F148
	v_mfma_f32_16x16x32_fp8_fp8 v[204:207], a[74:75], a[250:251], v[204:207]// 00000000BEE4: D3F300CC 1F33F54A
	v_mfma_f32_16x16x32_fp8_fp8 v[204:207], a[76:77], a[252:253], v[204:207]// 00000000BEEC: D3F300CC 1F33F94C
	v_mfma_f32_16x16x32_fp8_fp8 v[204:207], a[78:79], a[254:255], v[204:207]// 00000000BEF4: D3F300CC 1F33FD4E
	s_waitcnt vmcnt(13)                                        // 00000000BEFC: BF8C0F7D
	v_mfma_f32_16x16x32_fp8_fp8 v[208:211], a[88:89], a[200:201], 0// 00000000BF00: D3F300D0 1A039158
	buffer_load_dwordx4 a[24:27], v48, s[24:27], 0 offen offset:2048// 00000000BF08: E05C1800 80861830
	v_mfma_f32_16x16x32_fp8_fp8 v[208:211], a[90:91], a[202:203], v[208:211]// 00000000BF10: D3F300D0 1F43955A
	v_mfma_f32_16x16x32_fp8_fp8 v[208:211], a[92:93], a[204:205], v[208:211]// 00000000BF18: D3F300D0 1F43995C
	v_mfma_f32_16x16x32_fp8_fp8 v[208:211], a[94:95], a[206:207], v[208:211]// 00000000BF20: D3F300D0 1F439D5E
	v_mfma_f32_16x16x32_fp8_fp8 v[212:215], a[88:89], a[216:217], 0// 00000000BF28: D3F300D4 1A03B158
	v_mfma_f32_16x16x32_fp8_fp8 v[212:215], a[90:91], a[218:219], v[212:215]// 00000000BF30: D3F300D4 1F53B55A
	v_mfma_f32_16x16x32_fp8_fp8 v[212:215], a[92:93], a[220:221], v[212:215]// 00000000BF38: D3F300D4 1F53B95C
	v_mfma_f32_16x16x32_fp8_fp8 v[212:215], a[94:95], a[222:223], v[212:215]// 00000000BF40: D3F300D4 1F53BD5E
	v_mfma_f32_16x16x32_fp8_fp8 v[216:219], a[88:89], a[232:233], 0// 00000000BF48: D3F300D8 1A03D158
	buffer_load_dwordx4 a[28:31], v48, s[24:27], 0 offen offset:3072// 00000000BF50: E05C1C00 80861C30
	v_mfma_f32_16x16x32_fp8_fp8 v[216:219], a[90:91], a[234:235], v[216:219]// 00000000BF58: D3F300D8 1F63D55A
	v_mfma_f32_16x16x32_fp8_fp8 v[216:219], a[92:93], a[236:237], v[216:219]// 00000000BF60: D3F300D8 1F63D95C
	v_mfma_f32_16x16x32_fp8_fp8 v[216:219], a[94:95], a[238:239], v[216:219]// 00000000BF68: D3F300D8 1F63DD5E
	v_mfma_f32_16x16x32_fp8_fp8 v[220:223], a[88:89], a[248:249], 0// 00000000BF70: D3F300DC 1A03F158
	v_mfma_f32_16x16x32_fp8_fp8 v[220:223], a[90:91], a[250:251], v[220:223]// 00000000BF78: D3F300DC 1F73F55A
	v_mfma_f32_16x16x32_fp8_fp8 v[220:223], a[92:93], a[252:253], v[220:223]// 00000000BF80: D3F300DC 1F73F95C
	v_mfma_f32_16x16x32_fp8_fp8 v[220:223], a[94:95], a[254:255], v[220:223]// 00000000BF88: D3F300DC 1F73FD5E
	s_waitcnt vmcnt(13)                                        // 00000000BF90: BF8C0F7D
	v_mfma_f32_16x16x32_fp8_fp8 v[224:227], a[104:105], a[200:201], 0// 00000000BF94: D3F300E0 1A039168
	buffer_load_dwordx4 a[40:43], v49, s[24:27], 0 offen offset:2048// 00000000BF9C: E05C1800 80862831
	v_mfma_f32_16x16x32_fp8_fp8 v[224:227], a[106:107], a[202:203], v[224:227]// 00000000BFA4: D3F300E0 1F83956A
	v_mfma_f32_16x16x32_fp8_fp8 v[224:227], a[108:109], a[204:205], v[224:227]// 00000000BFAC: D3F300E0 1F83996C
	v_mfma_f32_16x16x32_fp8_fp8 v[224:227], a[110:111], a[206:207], v[224:227]// 00000000BFB4: D3F300E0 1F839D6E
	v_mfma_f32_16x16x32_fp8_fp8 v[228:231], a[104:105], a[216:217], 0// 00000000BFBC: D3F300E4 1A03B168
	v_mfma_f32_16x16x32_fp8_fp8 v[228:231], a[106:107], a[218:219], v[228:231]// 00000000BFC4: D3F300E4 1F93B56A
	v_mfma_f32_16x16x32_fp8_fp8 v[228:231], a[108:109], a[220:221], v[228:231]// 00000000BFCC: D3F300E4 1F93B96C
	v_mfma_f32_16x16x32_fp8_fp8 v[228:231], a[110:111], a[222:223], v[228:231]// 00000000BFD4: D3F300E4 1F93BD6E
	v_mfma_f32_16x16x32_fp8_fp8 v[232:235], a[104:105], a[232:233], 0// 00000000BFDC: D3F300E8 1A03D168
	buffer_load_dwordx4 a[44:47], v49, s[24:27], 0 offen offset:3072// 00000000BFE4: E05C1C00 80862C31
	v_mfma_f32_16x16x32_fp8_fp8 v[232:235], a[106:107], a[234:235], v[232:235]// 00000000BFEC: D3F300E8 1FA3D56A
	v_mfma_f32_16x16x32_fp8_fp8 v[232:235], a[108:109], a[236:237], v[232:235]// 00000000BFF4: D3F300E8 1FA3D96C
	v_mfma_f32_16x16x32_fp8_fp8 v[232:235], a[110:111], a[238:239], v[232:235]// 00000000BFFC: D3F300E8 1FA3DD6E
	v_mfma_f32_16x16x32_fp8_fp8 v[236:239], a[104:105], a[248:249], 0// 00000000C004: D3F300EC 1A03F168
	v_mfma_f32_16x16x32_fp8_fp8 v[236:239], a[106:107], a[250:251], v[236:239]// 00000000C00C: D3F300EC 1FB3F56A
	v_mfma_f32_16x16x32_fp8_fp8 v[236:239], a[108:109], a[252:253], v[236:239]// 00000000C014: D3F300EC 1FB3F96C
	v_mfma_f32_16x16x32_fp8_fp8 v[236:239], a[110:111], a[254:255], v[236:239]// 00000000C01C: D3F300EC 1FB3FD6E
	s_waitcnt vmcnt(13)                                        // 00000000C024: BF8C0F7D
	v_mfma_f32_16x16x32_fp8_fp8 v[240:243], a[120:121], a[200:201], 0// 00000000C028: D3F300F0 1A039178
	buffer_load_dwordx4 a[56:59], v50, s[24:27], 0 offen offset:2048// 00000000C030: E05C1800 80863832
	v_mfma_f32_16x16x32_fp8_fp8 v[240:243], a[122:123], a[202:203], v[240:243]// 00000000C038: D3F300F0 1FC3957A
	v_mfma_f32_16x16x32_fp8_fp8 v[240:243], a[124:125], a[204:205], v[240:243]// 00000000C040: D3F300F0 1FC3997C
	v_mfma_f32_16x16x32_fp8_fp8 v[240:243], a[126:127], a[206:207], v[240:243]// 00000000C048: D3F300F0 1FC39D7E
	v_mfma_f32_16x16x32_fp8_fp8 v[244:247], a[120:121], a[216:217], 0// 00000000C050: D3F300F4 1A03B178
	v_mfma_f32_16x16x32_fp8_fp8 v[244:247], a[122:123], a[218:219], v[244:247]// 00000000C058: D3F300F4 1FD3B57A
	v_mfma_f32_16x16x32_fp8_fp8 v[244:247], a[124:125], a[220:221], v[244:247]// 00000000C060: D3F300F4 1FD3B97C
	v_mfma_f32_16x16x32_fp8_fp8 v[244:247], a[126:127], a[222:223], v[244:247]// 00000000C068: D3F300F4 1FD3BD7E
	v_mfma_f32_16x16x32_fp8_fp8 v[248:251], a[120:121], a[232:233], 0// 00000000C070: D3F300F8 1A03D178
	buffer_load_dwordx4 a[60:63], v50, s[24:27], 0 offen offset:3072// 00000000C078: E05C1C00 80863C32
	v_mfma_f32_16x16x32_fp8_fp8 v[248:251], a[122:123], a[234:235], v[248:251]// 00000000C080: D3F300F8 1FE3D57A
	v_mfma_f32_16x16x32_fp8_fp8 v[248:251], a[124:125], a[236:237], v[248:251]// 00000000C088: D3F300F8 1FE3D97C
	v_mfma_f32_16x16x32_fp8_fp8 v[248:251], a[126:127], a[238:239], v[248:251]// 00000000C090: D3F300F8 1FE3DD7E
	v_mfma_f32_16x16x32_fp8_fp8 v[252:255], a[120:121], a[248:249], 0// 00000000C098: D3F300FC 1A03F178
	v_mfma_f32_16x16x32_fp8_fp8 v[252:255], a[122:123], a[250:251], v[252:255]// 00000000C0A0: D3F300FC 1FF3F57A
	v_mfma_f32_16x16x32_fp8_fp8 v[252:255], a[124:125], a[252:253], v[252:255]// 00000000C0A8: D3F300FC 1FF3F97C
	v_mfma_f32_16x16x32_fp8_fp8 v[252:255], a[126:127], a[254:255], v[252:255]// 00000000C0B0: D3F300FC 1FF3FD7E
	v_mul_f32_dpp v60, v38, v33 row_newbcast:2 row_mask:0xf bank_mask:0xf// 00000000C0B8: 0A7842FA FF015226
	v_mov_b32_e32 v61, v60                                     // 00000000C0C0: 7E7A033C
	v_pk_fma_f32 v[128:129], v[192:193], v[60:61], v[128:129]  // 00000000C0C4: D3B04080 1E0279C0
	v_pk_fma_f32 v[130:131], v[194:195], v[60:61], v[130:131]  // 00000000C0CC: D3B04082 1E0A79C2
	v_pk_fma_f32 v[144:145], v[208:209], v[60:61], v[144:145]  // 00000000C0D4: D3B04090 1E4279D0
	v_pk_fma_f32 v[146:147], v[210:211], v[60:61], v[146:147]  // 00000000C0DC: D3B04092 1E4A79D2
	v_mul_f32_dpp v60, v38, v33 row_newbcast:3 row_mask:0xf bank_mask:0xf// 00000000C0E4: 0A7842FA FF015326
	v_mov_b32_e32 v61, v60                                     // 00000000C0EC: 7E7A033C
	v_pk_fma_f32 v[160:161], v[224:225], v[60:61], v[160:161]  // 00000000C0F0: D3B040A0 1E8279E0
	v_pk_fma_f32 v[162:163], v[226:227], v[60:61], v[162:163]  // 00000000C0F8: D3B040A2 1E8A79E2
	v_pk_fma_f32 v[176:177], v[240:241], v[60:61], v[176:177]  // 00000000C100: D3B040B0 1EC279F0
	v_pk_fma_f32 v[178:179], v[242:243], v[60:61], v[178:179]  // 00000000C108: D3B040B2 1ECA79F2
	v_mul_f32_dpp v60, v38, v34 row_newbcast:2 row_mask:0xf bank_mask:0xf// 00000000C110: 0A7844FA FF015226
	v_mov_b32_e32 v61, v60                                     // 00000000C118: 7E7A033C
	v_pk_fma_f32 v[132:133], v[196:197], v[60:61], v[132:133]  // 00000000C11C: D3B04084 1E1279C4
	v_pk_fma_f32 v[134:135], v[198:199], v[60:61], v[134:135]  // 00000000C124: D3B04086 1E1A79C6
	v_pk_fma_f32 v[148:149], v[212:213], v[60:61], v[148:149]  // 00000000C12C: D3B04094 1E5279D4
	v_pk_fma_f32 v[150:151], v[214:215], v[60:61], v[150:151]  // 00000000C134: D3B04096 1E5A79D6
	v_mul_f32_dpp v60, v38, v34 row_newbcast:3 row_mask:0xf bank_mask:0xf// 00000000C13C: 0A7844FA FF015326
	v_mov_b32_e32 v61, v60                                     // 00000000C144: 7E7A033C
	v_pk_fma_f32 v[164:165], v[228:229], v[60:61], v[164:165]  // 00000000C148: D3B040A4 1E9279E4
	v_pk_fma_f32 v[166:167], v[230:231], v[60:61], v[166:167]  // 00000000C150: D3B040A6 1E9A79E6
	v_pk_fma_f32 v[180:181], v[244:245], v[60:61], v[180:181]  // 00000000C158: D3B040B4 1ED279F4
	v_pk_fma_f32 v[182:183], v[246:247], v[60:61], v[182:183]  // 00000000C160: D3B040B6 1EDA79F6
	v_mul_f32_dpp v60, v38, v35 row_newbcast:2 row_mask:0xf bank_mask:0xf// 00000000C168: 0A7846FA FF015226
	v_mov_b32_e32 v61, v60                                     // 00000000C170: 7E7A033C
	v_pk_fma_f32 v[136:137], v[200:201], v[60:61], v[136:137]  // 00000000C174: D3B04088 1E2279C8
	v_pk_fma_f32 v[138:139], v[202:203], v[60:61], v[138:139]  // 00000000C17C: D3B0408A 1E2A79CA
	v_pk_fma_f32 v[152:153], v[216:217], v[60:61], v[152:153]  // 00000000C184: D3B04098 1E6279D8
	v_pk_fma_f32 v[154:155], v[218:219], v[60:61], v[154:155]  // 00000000C18C: D3B0409A 1E6A79DA
	v_mul_f32_dpp v60, v38, v35 row_newbcast:3 row_mask:0xf bank_mask:0xf// 00000000C194: 0A7846FA FF015326
	v_mov_b32_e32 v61, v60                                     // 00000000C19C: 7E7A033C
	v_pk_fma_f32 v[168:169], v[232:233], v[60:61], v[168:169]  // 00000000C1A0: D3B040A8 1EA279E8
	v_pk_fma_f32 v[170:171], v[234:235], v[60:61], v[170:171]  // 00000000C1A8: D3B040AA 1EAA79EA
	v_pk_fma_f32 v[184:185], v[248:249], v[60:61], v[184:185]  // 00000000C1B0: D3B040B8 1EE279F8
	v_pk_fma_f32 v[186:187], v[250:251], v[60:61], v[186:187]  // 00000000C1B8: D3B040BA 1EEA79FA
	v_mul_f32_dpp v60, v38, v36 row_newbcast:2 row_mask:0xf bank_mask:0xf// 00000000C1C0: 0A7848FA FF015226
	v_mov_b32_e32 v61, v60                                     // 00000000C1C8: 7E7A033C
	v_pk_fma_f32 v[140:141], v[204:205], v[60:61], v[140:141]  // 00000000C1CC: D3B0408C 1E3279CC
	v_pk_fma_f32 v[142:143], v[206:207], v[60:61], v[142:143]  // 00000000C1D4: D3B0408E 1E3A79CE
	v_pk_fma_f32 v[156:157], v[220:221], v[60:61], v[156:157]  // 00000000C1DC: D3B0409C 1E7279DC
	v_pk_fma_f32 v[158:159], v[222:223], v[60:61], v[158:159]  // 00000000C1E4: D3B0409E 1E7A79DE
	v_mul_f32_dpp v60, v38, v36 row_newbcast:3 row_mask:0xf bank_mask:0xf// 00000000C1EC: 0A7848FA FF015326
	v_mov_b32_e32 v61, v60                                     // 00000000C1F4: 7E7A033C
	v_pk_fma_f32 v[172:173], v[236:237], v[60:61], v[172:173]  // 00000000C1F8: D3B040AC 1EB279EC
	v_pk_fma_f32 v[174:175], v[238:239], v[60:61], v[174:175]  // 00000000C200: D3B040AE 1EBA79EE
	v_pk_fma_f32 v[188:189], v[252:253], v[60:61], v[188:189]  // 00000000C208: D3B040BC 1EF279FC
	v_pk_fma_f32 v[190:191], v[254:255], v[60:61], v[190:191]  // 00000000C210: D3B040BE 1EFA79FE
	s_add_u32 s56, 0x200, s76                                  // 00000000C218: 80384CFF 00000200
	s_cmp_lt_u32 s56, s77                                      // 00000000C220: BF0A4D38
	s_cselect_b32 s53, s53, 0                                  // 00000000C224: 85358035
	s_cselect_b32 s3, s3, 0                                    // 00000000C228: 85038003
	s_add_u32 s56, 0x200, s76                                  // 00000000C22C: 80384CFF 00000200
	s_cmp_lt_u32 s56, s77                                      // 00000000C234: BF0A4D38
	s_cselect_b32 s54, s54, 0                                  // 00000000C238: 85368036
	s_add_u32 s20, s53, s20                                    // 00000000C23C: 80141435
	s_addc_u32 s21, 0, s21                                     // 00000000C240: 82151580
	s_add_u32 s28, s3, s28                                     // 00000000C244: 801C1C03
	s_addc_u32 s29, 0, s29                                     // 00000000C248: 821D1D80
	s_add_u32 s24, s54, s24                                    // 00000000C24C: 80181836
	s_addc_u32 s25, 0, s25                                     // 00000000C250: 82191980
	s_add_u32 s96, s94, s96                                    // 00000000C254: 8060605E
	s_addc_u32 s97, 0, s97                                     // 00000000C258: 82616180
	s_addk_i32 s76, 0x100                                      // 00000000C25C: B74C0100
	s_cmp_lt_i32 s76, s77                                      // 00000000C260: BF044D4C
	s_cbranch_scc0 label_251B                                  // 00000000C264: BF840001
	s_branch label_1C32                                        // 00000000C268: BF82F717

000000000000c26c <label_251B>:
	s_mov_b32 s20, 0                                           // 00000000C26C: BE940080
	s_cmp_lt_u32 s93, s62                                      // 00000000C270: BF0A3E5D
	s_cselect_b32 s56, 0, 1                                    // 00000000C274: 85388180
	s_lshl1_add_u32 s20, s20, s56                              // 00000000C278: 97143814
	s_cmp_lt_u32 s92, s62                                      // 00000000C27C: BF0A3E5C
	s_cselect_b32 s56, 0, 1                                    // 00000000C280: 85388180
	s_lshl1_add_u32 s20, s20, s56                              // 00000000C284: 97143814
	s_cmp_lt_u32 s91, s62                                      // 00000000C288: BF0A3E5B
	s_cselect_b32 s56, 0, 1                                    // 00000000C28C: 85388180
	s_lshl1_add_u32 s20, s20, s56                              // 00000000C290: 97143814
	s_cmp_lt_u32 s90, s62                                      // 00000000C294: BF0A3E5A
	s_cselect_b32 s56, 0, 1                                    // 00000000C298: 85388180
	s_lshl1_add_u32 s20, s20, s56                              // 00000000C29C: 97143814
	s_cmp_lt_u32 s89, s62                                      // 00000000C2A0: BF0A3E59
	s_cselect_b32 s56, 0, 1                                    // 00000000C2A4: 85388180
	s_lshl1_add_u32 s20, s20, s56                              // 00000000C2A8: 97143814
	s_cmp_lt_u32 s88, s62                                      // 00000000C2AC: BF0A3E58
	s_cselect_b32 s56, 0, 1                                    // 00000000C2B0: 85388180
	s_lshl1_add_u32 s20, s20, s56                              // 00000000C2B4: 97143814
	s_cmp_lt_u32 s87, s62                                      // 00000000C2B8: BF0A3E57
	s_cselect_b32 s56, 0, 1                                    // 00000000C2BC: 85388180
	s_lshl1_add_u32 s20, s20, s56                              // 00000000C2C0: 97143814
	s_cmp_lt_u32 s86, s62                                      // 00000000C2C4: BF0A3E56
	s_cselect_b32 s56, 0, 1                                    // 00000000C2C8: 85388180
	s_lshl1_add_u32 s20, s20, s56                              // 00000000C2CC: 97143814
	s_cmp_lt_u32 s85, s62                                      // 00000000C2D0: BF0A3E55
	s_cselect_b32 s56, 0, 1                                    // 00000000C2D4: 85388180
	s_lshl1_add_u32 s20, s20, s56                              // 00000000C2D8: 97143814
	s_cmp_lt_u32 s84, s62                                      // 00000000C2DC: BF0A3E54
	s_cselect_b32 s56, 0, 1                                    // 00000000C2E0: 85388180
	s_lshl1_add_u32 s20, s20, s56                              // 00000000C2E4: 97143814
	s_cmp_lt_u32 s83, s62                                      // 00000000C2E8: BF0A3E53
	s_cselect_b32 s56, 0, 1                                    // 00000000C2EC: 85388180
	s_lshl1_add_u32 s20, s20, s56                              // 00000000C2F0: 97143814
	s_cmp_lt_u32 s82, s62                                      // 00000000C2F4: BF0A3E52
	s_cselect_b32 s56, 0, 1                                    // 00000000C2F8: 85388180
	s_lshl1_add_u32 s20, s20, s56                              // 00000000C2FC: 97143814
	s_cmp_lt_u32 s81, s62                                      // 00000000C300: BF0A3E51
	s_cselect_b32 s56, 0, 1                                    // 00000000C304: 85388180
	s_lshl1_add_u32 s20, s20, s56                              // 00000000C308: 97143814
	s_cmp_lt_u32 s80, s62                                      // 00000000C30C: BF0A3E50
	s_cselect_b32 s56, 0, 1                                    // 00000000C310: 85388180
	s_lshl1_add_u32 s20, s20, s56                              // 00000000C314: 97143814
	s_cmp_lt_u32 s79, s62                                      // 00000000C318: BF0A3E4F
	s_cselect_b32 s56, 0, 1                                    // 00000000C31C: 85388180
	s_lshl1_add_u32 s20, s20, s56                              // 00000000C320: 97143814
	s_cmp_lt_u32 s78, s62                                      // 00000000C324: BF0A3E4E
	s_cselect_b32 s56, 0, 1                                    // 00000000C328: 85388180
	s_lshl1_add_u32 s20, s20, s56                              // 00000000C32C: 97143814
	s_waitcnt vmcnt(12)                                        // 00000000C330: BF8C0F7C
	buffer_load_dwordx4 a[0:3], v51, s[12:15], 0 offen         // 00000000C334: E05C1000 80830033
	v_mul_f32_e64 v60, -v64, s6                                // 00000000C33C: D105003C 20000D40
	v_mul_f32_e64 v61, -v65, s6                                // 00000000C344: D105003D 20000D41
	v_mul_f32_e64 v62, -v66, s6                                // 00000000C34C: D105003E 20000D42
	v_mul_f32_e64 v63, -v67, s6                                // 00000000C354: D105003F 20000D43
	v_exp_f32_e32 v60, v60                                     // 00000000C35C: 7E78413C
	v_exp_f32_e32 v61, v61                                     // 00000000C360: 7E7A413D
	v_exp_f32_e32 v62, v62                                     // 00000000C364: 7E7C413E
	v_exp_f32_e32 v63, v63                                     // 00000000C368: 7E7E413F
	buffer_load_dwordx4 a[4:7], v52, s[12:15], 0 offen         // 00000000C36C: E05C1000 80830434
	v_add_f32_e64 v60, v60, 1.0                                // 00000000C374: D101003C 0001E53C
	v_add_f32_e64 v61, v61, 1.0                                // 00000000C37C: D101003D 0001E53D
	v_add_f32_e64 v62, v62, 1.0                                // 00000000C384: D101003E 0001E53E
	v_add_f32_e64 v63, v63, 1.0                                // 00000000C38C: D101003F 0001E53F
	v_rcp_f32_e32 v60, v60                                     // 00000000C394: 7E78453C
	v_rcp_f32_e32 v61, v61                                     // 00000000C398: 7E7A453D
	v_rcp_f32_e32 v62, v62                                     // 00000000C39C: 7E7C453E
	v_rcp_f32_e32 v63, v63                                     // 00000000C3A0: 7E7E453F
	v_mul_f32_e32 v64, v64, v60                                // 00000000C3A4: 0A807940
	v_mul_f32_e32 v65, v65, v61                                // 00000000C3A8: 0A827B41
	v_mul_f32_e32 v66, v66, v62                                // 00000000C3AC: 0A847D42
	v_mul_f32_e32 v67, v67, v63                                // 00000000C3B0: 0A867F43
	v_mul_f32_e32 v64, v64, v128                               // 00000000C3B4: 0A810140
	v_mul_f32_e32 v65, v65, v129                               // 00000000C3B8: 0A830341
	v_mul_f32_e32 v66, v66, v130                               // 00000000C3BC: 0A850542
	v_mul_f32_e32 v67, v67, v131                               // 00000000C3C0: 0A870743
	buffer_load_dwordx4 a[8:11], v53, s[12:15], 0 offen        // 00000000C3C4: E05C1000 80830835
	v_mul_f32_e64 v60, -v68, s6                                // 00000000C3CC: D105003C 20000D44
	v_mul_f32_e64 v61, -v69, s6                                // 00000000C3D4: D105003D 20000D45
	v_mul_f32_e64 v62, -v70, s6                                // 00000000C3DC: D105003E 20000D46
	v_mul_f32_e64 v63, -v71, s6                                // 00000000C3E4: D105003F 20000D47
	v_exp_f32_e32 v60, v60                                     // 00000000C3EC: 7E78413C
	v_exp_f32_e32 v61, v61                                     // 00000000C3F0: 7E7A413D
	v_exp_f32_e32 v62, v62                                     // 00000000C3F4: 7E7C413E
	v_exp_f32_e32 v63, v63                                     // 00000000C3F8: 7E7E413F
	buffer_load_dwordx4 a[12:15], v54, s[12:15], 0 offen       // 00000000C3FC: E05C1000 80830C36
	s_add_u32 s12, s74, s12                                    // 00000000C404: 800C0C4A
	s_addc_u32 s13, 0, s13                                     // 00000000C408: 820D0D80
	v_add_f32_e64 v60, v60, 1.0                                // 00000000C40C: D101003C 0001E53C
	v_add_f32_e64 v61, v61, 1.0                                // 00000000C414: D101003D 0001E53D
	v_add_f32_e64 v62, v62, 1.0                                // 00000000C41C: D101003E 0001E53E
	v_add_f32_e64 v63, v63, 1.0                                // 00000000C424: D101003F 0001E53F
	v_rcp_f32_e32 v60, v60                                     // 00000000C42C: 7E78453C
	v_rcp_f32_e32 v61, v61                                     // 00000000C430: 7E7A453D
	v_rcp_f32_e32 v62, v62                                     // 00000000C434: 7E7C453E
	v_rcp_f32_e32 v63, v63                                     // 00000000C438: 7E7E453F
	v_mul_f32_e32 v68, v68, v60                                // 00000000C43C: 0A887944
	v_mul_f32_e32 v69, v69, v61                                // 00000000C440: 0A8A7B45
	v_mul_f32_e32 v70, v70, v62                                // 00000000C444: 0A8C7D46
	v_mul_f32_e32 v71, v71, v63                                // 00000000C448: 0A8E7F47
	v_mul_f32_e32 v68, v68, v132                               // 00000000C44C: 0A890944
	v_mul_f32_e32 v69, v69, v133                               // 00000000C450: 0A8B0B45
	v_mul_f32_e32 v70, v70, v134                               // 00000000C454: 0A8D0D46
	v_mul_f32_e32 v71, v71, v135                               // 00000000C458: 0A8F0F47
	s_waitcnt vmcnt(12)                                        // 00000000C45C: BF8C0F7C
	buffer_load_dwordx4 a[16:19], v51, s[12:15], 0 offen       // 00000000C460: E05C1000 80831033
	v_mul_f32_e64 v60, -v72, s6                                // 00000000C468: D105003C 20000D48
	v_mul_f32_e64 v61, -v73, s6                                // 00000000C470: D105003D 20000D49
	v_mul_f32_e64 v62, -v74, s6                                // 00000000C478: D105003E 20000D4A
	v_mul_f32_e64 v63, -v75, s6                                // 00000000C480: D105003F 20000D4B
	v_exp_f32_e32 v60, v60                                     // 00000000C488: 7E78413C
	v_exp_f32_e32 v61, v61                                     // 00000000C48C: 7E7A413D
	v_exp_f32_e32 v62, v62                                     // 00000000C490: 7E7C413E
	v_exp_f32_e32 v63, v63                                     // 00000000C494: 7E7E413F
	buffer_load_dwordx4 a[20:23], v52, s[12:15], 0 offen       // 00000000C498: E05C1000 80831434
	v_add_f32_e64 v60, v60, 1.0                                // 00000000C4A0: D101003C 0001E53C
	v_add_f32_e64 v61, v61, 1.0                                // 00000000C4A8: D101003D 0001E53D
	v_add_f32_e64 v62, v62, 1.0                                // 00000000C4B0: D101003E 0001E53E
	v_add_f32_e64 v63, v63, 1.0                                // 00000000C4B8: D101003F 0001E53F
	v_rcp_f32_e32 v60, v60                                     // 00000000C4C0: 7E78453C
	v_rcp_f32_e32 v61, v61                                     // 00000000C4C4: 7E7A453D
	v_rcp_f32_e32 v62, v62                                     // 00000000C4C8: 7E7C453E
	v_rcp_f32_e32 v63, v63                                     // 00000000C4CC: 7E7E453F
	v_mul_f32_e32 v72, v72, v60                                // 00000000C4D0: 0A907948
	v_mul_f32_e32 v73, v73, v61                                // 00000000C4D4: 0A927B49
	v_mul_f32_e32 v74, v74, v62                                // 00000000C4D8: 0A947D4A
	v_mul_f32_e32 v75, v75, v63                                // 00000000C4DC: 0A967F4B
	v_mul_f32_e32 v72, v72, v136                               // 00000000C4E0: 0A911148
	v_mul_f32_e32 v73, v73, v137                               // 00000000C4E4: 0A931349
	v_mul_f32_e32 v74, v74, v138                               // 00000000C4E8: 0A95154A
	v_mul_f32_e32 v75, v75, v139                               // 00000000C4EC: 0A97174B
	buffer_load_dwordx4 a[24:27], v53, s[12:15], 0 offen       // 00000000C4F0: E05C1000 80831835
	v_mul_f32_e64 v60, -v76, s6                                // 00000000C4F8: D105003C 20000D4C
	v_mul_f32_e64 v61, -v77, s6                                // 00000000C500: D105003D 20000D4D
	v_mul_f32_e64 v62, -v78, s6                                // 00000000C508: D105003E 20000D4E
	v_mul_f32_e64 v63, -v79, s6                                // 00000000C510: D105003F 20000D4F
	v_exp_f32_e32 v60, v60                                     // 00000000C518: 7E78413C
	v_exp_f32_e32 v61, v61                                     // 00000000C51C: 7E7A413D
	v_exp_f32_e32 v62, v62                                     // 00000000C520: 7E7C413E
	v_exp_f32_e32 v63, v63                                     // 00000000C524: 7E7E413F
	buffer_load_dwordx4 a[28:31], v54, s[12:15], 0 offen       // 00000000C528: E05C1000 80831C36
	s_add_u32 s12, s74, s12                                    // 00000000C530: 800C0C4A
	s_addc_u32 s13, 0, s13                                     // 00000000C534: 820D0D80
	v_add_f32_e64 v60, v60, 1.0                                // 00000000C538: D101003C 0001E53C
	v_add_f32_e64 v61, v61, 1.0                                // 00000000C540: D101003D 0001E53D
	v_add_f32_e64 v62, v62, 1.0                                // 00000000C548: D101003E 0001E53E
	v_add_f32_e64 v63, v63, 1.0                                // 00000000C550: D101003F 0001E53F
	v_rcp_f32_e32 v60, v60                                     // 00000000C558: 7E78453C
	v_rcp_f32_e32 v61, v61                                     // 00000000C55C: 7E7A453D
	v_rcp_f32_e32 v62, v62                                     // 00000000C560: 7E7C453E
	v_rcp_f32_e32 v63, v63                                     // 00000000C564: 7E7E453F
	v_mul_f32_e32 v76, v76, v60                                // 00000000C568: 0A98794C
	v_mul_f32_e32 v77, v77, v61                                // 00000000C56C: 0A9A7B4D
	v_mul_f32_e32 v78, v78, v62                                // 00000000C570: 0A9C7D4E
	v_mul_f32_e32 v79, v79, v63                                // 00000000C574: 0A9E7F4F
	v_mul_f32_e32 v76, v76, v140                               // 00000000C578: 0A99194C
	v_mul_f32_e32 v77, v77, v141                               // 00000000C57C: 0A9B1B4D
	v_mul_f32_e32 v78, v78, v142                               // 00000000C580: 0A9D1D4E
	v_mul_f32_e32 v79, v79, v143                               // 00000000C584: 0A9F1F4F
	s_waitcnt vmcnt(12)                                        // 00000000C588: BF8C0F7C
	buffer_load_dwordx4 a[32:35], v51, s[12:15], 0 offen       // 00000000C58C: E05C1000 80832033
	v_mul_f32_e64 v60, -v80, s6                                // 00000000C594: D105003C 20000D50
	v_mul_f32_e64 v61, -v81, s6                                // 00000000C59C: D105003D 20000D51
	v_mul_f32_e64 v62, -v82, s6                                // 00000000C5A4: D105003E 20000D52
	v_mul_f32_e64 v63, -v83, s6                                // 00000000C5AC: D105003F 20000D53
	v_exp_f32_e32 v60, v60                                     // 00000000C5B4: 7E78413C
	v_exp_f32_e32 v61, v61                                     // 00000000C5B8: 7E7A413D
	v_exp_f32_e32 v62, v62                                     // 00000000C5BC: 7E7C413E
	v_exp_f32_e32 v63, v63                                     // 00000000C5C0: 7E7E413F
	buffer_load_dwordx4 a[36:39], v52, s[12:15], 0 offen       // 00000000C5C4: E05C1000 80832434
	v_add_f32_e64 v60, v60, 1.0                                // 00000000C5CC: D101003C 0001E53C
	v_add_f32_e64 v61, v61, 1.0                                // 00000000C5D4: D101003D 0001E53D
	v_add_f32_e64 v62, v62, 1.0                                // 00000000C5DC: D101003E 0001E53E
	v_add_f32_e64 v63, v63, 1.0                                // 00000000C5E4: D101003F 0001E53F
	v_rcp_f32_e32 v60, v60                                     // 00000000C5EC: 7E78453C
	v_rcp_f32_e32 v61, v61                                     // 00000000C5F0: 7E7A453D
	v_rcp_f32_e32 v62, v62                                     // 00000000C5F4: 7E7C453E
	v_rcp_f32_e32 v63, v63                                     // 00000000C5F8: 7E7E453F
	v_mul_f32_e32 v80, v80, v60                                // 00000000C5FC: 0AA07950
	v_mul_f32_e32 v81, v81, v61                                // 00000000C600: 0AA27B51
	v_mul_f32_e32 v82, v82, v62                                // 00000000C604: 0AA47D52
	v_mul_f32_e32 v83, v83, v63                                // 00000000C608: 0AA67F53
	v_mul_f32_e32 v80, v80, v144                               // 00000000C60C: 0AA12150
	v_mul_f32_e32 v81, v81, v145                               // 00000000C610: 0AA32351
	v_mul_f32_e32 v82, v82, v146                               // 00000000C614: 0AA52552
	v_mul_f32_e32 v83, v83, v147                               // 00000000C618: 0AA72753
	buffer_load_dwordx4 a[40:43], v53, s[12:15], 0 offen       // 00000000C61C: E05C1000 80832835
	v_mul_f32_e64 v60, -v84, s6                                // 00000000C624: D105003C 20000D54
	v_mul_f32_e64 v61, -v85, s6                                // 00000000C62C: D105003D 20000D55
	v_mul_f32_e64 v62, -v86, s6                                // 00000000C634: D105003E 20000D56
	v_mul_f32_e64 v63, -v87, s6                                // 00000000C63C: D105003F 20000D57
	v_exp_f32_e32 v60, v60                                     // 00000000C644: 7E78413C
	v_exp_f32_e32 v61, v61                                     // 00000000C648: 7E7A413D
	v_exp_f32_e32 v62, v62                                     // 00000000C64C: 7E7C413E
	v_exp_f32_e32 v63, v63                                     // 00000000C650: 7E7E413F
	buffer_load_dwordx4 a[44:47], v54, s[12:15], 0 offen       // 00000000C654: E05C1000 80832C36
	s_add_u32 s12, s74, s12                                    // 00000000C65C: 800C0C4A
	s_addc_u32 s13, 0, s13                                     // 00000000C660: 820D0D80
	v_add_f32_e64 v60, v60, 1.0                                // 00000000C664: D101003C 0001E53C
	v_add_f32_e64 v61, v61, 1.0                                // 00000000C66C: D101003D 0001E53D
	v_add_f32_e64 v62, v62, 1.0                                // 00000000C674: D101003E 0001E53E
	v_add_f32_e64 v63, v63, 1.0                                // 00000000C67C: D101003F 0001E53F
	v_rcp_f32_e32 v60, v60                                     // 00000000C684: 7E78453C
	v_rcp_f32_e32 v61, v61                                     // 00000000C688: 7E7A453D
	v_rcp_f32_e32 v62, v62                                     // 00000000C68C: 7E7C453E
	v_rcp_f32_e32 v63, v63                                     // 00000000C690: 7E7E453F
	v_mul_f32_e32 v84, v84, v60                                // 00000000C694: 0AA87954
	v_mul_f32_e32 v85, v85, v61                                // 00000000C698: 0AAA7B55
	v_mul_f32_e32 v86, v86, v62                                // 00000000C69C: 0AAC7D56
	v_mul_f32_e32 v87, v87, v63                                // 00000000C6A0: 0AAE7F57
	v_mul_f32_e32 v84, v84, v148                               // 00000000C6A4: 0AA92954
	v_mul_f32_e32 v85, v85, v149                               // 00000000C6A8: 0AAB2B55
	v_mul_f32_e32 v86, v86, v150                               // 00000000C6AC: 0AAD2D56
	v_mul_f32_e32 v87, v87, v151                               // 00000000C6B0: 0AAF2F57
	s_waitcnt vmcnt(12)                                        // 00000000C6B4: BF8C0F7C
	buffer_load_dwordx4 a[48:51], v51, s[12:15], 0 offen       // 00000000C6B8: E05C1000 80833033
	v_mul_f32_e64 v60, -v88, s6                                // 00000000C6C0: D105003C 20000D58
	v_mul_f32_e64 v61, -v89, s6                                // 00000000C6C8: D105003D 20000D59
	v_mul_f32_e64 v62, -v90, s6                                // 00000000C6D0: D105003E 20000D5A
	v_mul_f32_e64 v63, -v91, s6                                // 00000000C6D8: D105003F 20000D5B
	v_exp_f32_e32 v60, v60                                     // 00000000C6E0: 7E78413C
	v_exp_f32_e32 v61, v61                                     // 00000000C6E4: 7E7A413D
	v_exp_f32_e32 v62, v62                                     // 00000000C6E8: 7E7C413E
	v_exp_f32_e32 v63, v63                                     // 00000000C6EC: 7E7E413F
	buffer_load_dwordx4 a[52:55], v52, s[12:15], 0 offen       // 00000000C6F0: E05C1000 80833434
	v_add_f32_e64 v60, v60, 1.0                                // 00000000C6F8: D101003C 0001E53C
	v_add_f32_e64 v61, v61, 1.0                                // 00000000C700: D101003D 0001E53D
	v_add_f32_e64 v62, v62, 1.0                                // 00000000C708: D101003E 0001E53E
	v_add_f32_e64 v63, v63, 1.0                                // 00000000C710: D101003F 0001E53F
	v_rcp_f32_e32 v60, v60                                     // 00000000C718: 7E78453C
	v_rcp_f32_e32 v61, v61                                     // 00000000C71C: 7E7A453D
	v_rcp_f32_e32 v62, v62                                     // 00000000C720: 7E7C453E
	v_rcp_f32_e32 v63, v63                                     // 00000000C724: 7E7E453F
	v_mul_f32_e32 v88, v88, v60                                // 00000000C728: 0AB07958
	v_mul_f32_e32 v89, v89, v61                                // 00000000C72C: 0AB27B59
	v_mul_f32_e32 v90, v90, v62                                // 00000000C730: 0AB47D5A
	v_mul_f32_e32 v91, v91, v63                                // 00000000C734: 0AB67F5B
	v_mul_f32_e32 v88, v88, v152                               // 00000000C738: 0AB13158
	v_mul_f32_e32 v89, v89, v153                               // 00000000C73C: 0AB33359
	v_mul_f32_e32 v90, v90, v154                               // 00000000C740: 0AB5355A
	v_mul_f32_e32 v91, v91, v155                               // 00000000C744: 0AB7375B
	buffer_load_dwordx4 a[56:59], v53, s[12:15], 0 offen       // 00000000C748: E05C1000 80833835
	v_mul_f32_e64 v60, -v92, s6                                // 00000000C750: D105003C 20000D5C
	v_mul_f32_e64 v61, -v93, s6                                // 00000000C758: D105003D 20000D5D
	v_mul_f32_e64 v62, -v94, s6                                // 00000000C760: D105003E 20000D5E
	v_mul_f32_e64 v63, -v95, s6                                // 00000000C768: D105003F 20000D5F
	v_exp_f32_e32 v60, v60                                     // 00000000C770: 7E78413C
	v_exp_f32_e32 v61, v61                                     // 00000000C774: 7E7A413D
	v_exp_f32_e32 v62, v62                                     // 00000000C778: 7E7C413E
	v_exp_f32_e32 v63, v63                                     // 00000000C77C: 7E7E413F
	buffer_load_dwordx4 a[60:63], v54, s[12:15], 0 offen       // 00000000C780: E05C1000 80833C36
	v_add_f32_e64 v60, v60, 1.0                                // 00000000C788: D101003C 0001E53C
	v_add_f32_e64 v61, v61, 1.0                                // 00000000C790: D101003D 0001E53D
	v_add_f32_e64 v62, v62, 1.0                                // 00000000C798: D101003E 0001E53E
	v_add_f32_e64 v63, v63, 1.0                                // 00000000C7A0: D101003F 0001E53F
	v_rcp_f32_e32 v60, v60                                     // 00000000C7A8: 7E78453C
	v_rcp_f32_e32 v61, v61                                     // 00000000C7AC: 7E7A453D
	v_rcp_f32_e32 v62, v62                                     // 00000000C7B0: 7E7C453E
	v_rcp_f32_e32 v63, v63                                     // 00000000C7B4: 7E7E453F
	v_mul_f32_e32 v92, v92, v60                                // 00000000C7B8: 0AB8795C
	v_mul_f32_e32 v93, v93, v61                                // 00000000C7BC: 0ABA7B5D
	v_mul_f32_e32 v94, v94, v62                                // 00000000C7C0: 0ABC7D5E
	v_mul_f32_e32 v95, v95, v63                                // 00000000C7C4: 0ABE7F5F
	v_mul_f32_e32 v92, v92, v156                               // 00000000C7C8: 0AB9395C
	v_mul_f32_e32 v93, v93, v157                               // 00000000C7CC: 0ABB3B5D
	v_mul_f32_e32 v94, v94, v158                               // 00000000C7D0: 0ABD3D5E
	v_mul_f32_e32 v95, v95, v159                               // 00000000C7D4: 0ABF3F5F
	s_waitcnt vmcnt(12)                                        // 00000000C7D8: BF8C0F7C
	v_mul_f32_e64 v60, -v96, s6                                // 00000000C7DC: D105003C 20000D60
	v_mul_f32_e64 v61, -v97, s6                                // 00000000C7E4: D105003D 20000D61
	v_mul_f32_e64 v62, -v98, s6                                // 00000000C7EC: D105003E 20000D62
	v_mul_f32_e64 v63, -v99, s6                                // 00000000C7F4: D105003F 20000D63
	v_exp_f32_e32 v60, v60                                     // 00000000C7FC: 7E78413C
	v_exp_f32_e32 v61, v61                                     // 00000000C800: 7E7A413D
	v_exp_f32_e32 v62, v62                                     // 00000000C804: 7E7C413E
	v_exp_f32_e32 v63, v63                                     // 00000000C808: 7E7E413F
	v_add_f32_e64 v60, v60, 1.0                                // 00000000C80C: D101003C 0001E53C
	v_add_f32_e64 v61, v61, 1.0                                // 00000000C814: D101003D 0001E53D
	v_add_f32_e64 v62, v62, 1.0                                // 00000000C81C: D101003E 0001E53E
	v_add_f32_e64 v63, v63, 1.0                                // 00000000C824: D101003F 0001E53F
	v_rcp_f32_e32 v60, v60                                     // 00000000C82C: 7E78453C
	v_rcp_f32_e32 v61, v61                                     // 00000000C830: 7E7A453D
	v_rcp_f32_e32 v62, v62                                     // 00000000C834: 7E7C453E
	v_rcp_f32_e32 v63, v63                                     // 00000000C838: 7E7E453F
	v_mul_f32_e32 v96, v96, v60                                // 00000000C83C: 0AC07960
	v_mul_f32_e32 v97, v97, v61                                // 00000000C840: 0AC27B61
	v_mul_f32_e32 v98, v98, v62                                // 00000000C844: 0AC47D62
	v_mul_f32_e32 v99, v99, v63                                // 00000000C848: 0AC67F63
	v_mul_f32_e32 v96, v96, v160                               // 00000000C84C: 0AC14160
	v_mul_f32_e32 v97, v97, v161                               // 00000000C850: 0AC34361
	v_mul_f32_e32 v98, v98, v162                               // 00000000C854: 0AC54562
	v_mul_f32_e32 v99, v99, v163                               // 00000000C858: 0AC74763
	v_mul_f32_e64 v60, -v100, s6                               // 00000000C85C: D105003C 20000D64
	v_mul_f32_e64 v61, -v101, s6                               // 00000000C864: D105003D 20000D65
	v_mul_f32_e64 v62, -v102, s6                               // 00000000C86C: D105003E 20000D66
	v_mul_f32_e64 v63, -v103, s6                               // 00000000C874: D105003F 20000D67
	v_exp_f32_e32 v60, v60                                     // 00000000C87C: 7E78413C
	v_exp_f32_e32 v61, v61                                     // 00000000C880: 7E7A413D
	v_exp_f32_e32 v62, v62                                     // 00000000C884: 7E7C413E
	v_exp_f32_e32 v63, v63                                     // 00000000C888: 7E7E413F
	v_add_f32_e64 v60, v60, 1.0                                // 00000000C88C: D101003C 0001E53C
	v_add_f32_e64 v61, v61, 1.0                                // 00000000C894: D101003D 0001E53D
	v_add_f32_e64 v62, v62, 1.0                                // 00000000C89C: D101003E 0001E53E
	v_add_f32_e64 v63, v63, 1.0                                // 00000000C8A4: D101003F 0001E53F
	v_rcp_f32_e32 v60, v60                                     // 00000000C8AC: 7E78453C
	v_rcp_f32_e32 v61, v61                                     // 00000000C8B0: 7E7A453D
	v_rcp_f32_e32 v62, v62                                     // 00000000C8B4: 7E7C453E
	v_rcp_f32_e32 v63, v63                                     // 00000000C8B8: 7E7E453F
	v_mul_f32_e32 v100, v100, v60                              // 00000000C8BC: 0AC87964
	v_mul_f32_e32 v101, v101, v61                              // 00000000C8C0: 0ACA7B65
	v_mul_f32_e32 v102, v102, v62                              // 00000000C8C4: 0ACC7D66
	v_mul_f32_e32 v103, v103, v63                              // 00000000C8C8: 0ACE7F67
	v_mul_f32_e32 v100, v100, v164                             // 00000000C8CC: 0AC94964
	v_mul_f32_e32 v101, v101, v165                             // 00000000C8D0: 0ACB4B65
	v_mul_f32_e32 v102, v102, v166                             // 00000000C8D4: 0ACD4D66
	v_mul_f32_e32 v103, v103, v167                             // 00000000C8D8: 0ACF4F67
	s_waitcnt vmcnt(12)                                        // 00000000C8DC: BF8C0F7C
	v_mul_f32_e64 v60, -v104, s6                               // 00000000C8E0: D105003C 20000D68
	v_mul_f32_e64 v61, -v105, s6                               // 00000000C8E8: D105003D 20000D69
	v_mul_f32_e64 v62, -v106, s6                               // 00000000C8F0: D105003E 20000D6A
	v_mul_f32_e64 v63, -v107, s6                               // 00000000C8F8: D105003F 20000D6B
	v_exp_f32_e32 v60, v60                                     // 00000000C900: 7E78413C
	v_exp_f32_e32 v61, v61                                     // 00000000C904: 7E7A413D
	v_exp_f32_e32 v62, v62                                     // 00000000C908: 7E7C413E
	v_exp_f32_e32 v63, v63                                     // 00000000C90C: 7E7E413F
	v_add_f32_e64 v60, v60, 1.0                                // 00000000C910: D101003C 0001E53C
	v_add_f32_e64 v61, v61, 1.0                                // 00000000C918: D101003D 0001E53D
	v_add_f32_e64 v62, v62, 1.0                                // 00000000C920: D101003E 0001E53E
	v_add_f32_e64 v63, v63, 1.0                                // 00000000C928: D101003F 0001E53F
	v_rcp_f32_e32 v60, v60                                     // 00000000C930: 7E78453C
	v_rcp_f32_e32 v61, v61                                     // 00000000C934: 7E7A453D
	v_rcp_f32_e32 v62, v62                                     // 00000000C938: 7E7C453E
	v_rcp_f32_e32 v63, v63                                     // 00000000C93C: 7E7E453F
	v_mul_f32_e32 v104, v104, v60                              // 00000000C940: 0AD07968
	v_mul_f32_e32 v105, v105, v61                              // 00000000C944: 0AD27B69
	v_mul_f32_e32 v106, v106, v62                              // 00000000C948: 0AD47D6A
	v_mul_f32_e32 v107, v107, v63                              // 00000000C94C: 0AD67F6B
	v_mul_f32_e32 v104, v104, v168                             // 00000000C950: 0AD15168
	v_mul_f32_e32 v105, v105, v169                             // 00000000C954: 0AD35369
	v_mul_f32_e32 v106, v106, v170                             // 00000000C958: 0AD5556A
	v_mul_f32_e32 v107, v107, v171                             // 00000000C95C: 0AD7576B
	v_mul_f32_e64 v60, -v108, s6                               // 00000000C960: D105003C 20000D6C
	v_mul_f32_e64 v61, -v109, s6                               // 00000000C968: D105003D 20000D6D
	v_mul_f32_e64 v62, -v110, s6                               // 00000000C970: D105003E 20000D6E
	v_mul_f32_e64 v63, -v111, s6                               // 00000000C978: D105003F 20000D6F
	v_exp_f32_e32 v60, v60                                     // 00000000C980: 7E78413C
	v_exp_f32_e32 v61, v61                                     // 00000000C984: 7E7A413D
	v_exp_f32_e32 v62, v62                                     // 00000000C988: 7E7C413E
	v_exp_f32_e32 v63, v63                                     // 00000000C98C: 7E7E413F
	v_add_f32_e64 v60, v60, 1.0                                // 00000000C990: D101003C 0001E53C
	v_add_f32_e64 v61, v61, 1.0                                // 00000000C998: D101003D 0001E53D
	v_add_f32_e64 v62, v62, 1.0                                // 00000000C9A0: D101003E 0001E53E
	v_add_f32_e64 v63, v63, 1.0                                // 00000000C9A8: D101003F 0001E53F
	v_rcp_f32_e32 v60, v60                                     // 00000000C9B0: 7E78453C
	v_rcp_f32_e32 v61, v61                                     // 00000000C9B4: 7E7A453D
	v_rcp_f32_e32 v62, v62                                     // 00000000C9B8: 7E7C453E
	v_rcp_f32_e32 v63, v63                                     // 00000000C9BC: 7E7E453F
	v_mul_f32_e32 v108, v108, v60                              // 00000000C9C0: 0AD8796C
	v_mul_f32_e32 v109, v109, v61                              // 00000000C9C4: 0ADA7B6D
	v_mul_f32_e32 v110, v110, v62                              // 00000000C9C8: 0ADC7D6E
	v_mul_f32_e32 v111, v111, v63                              // 00000000C9CC: 0ADE7F6F
	v_mul_f32_e32 v108, v108, v172                             // 00000000C9D0: 0AD9596C
	v_mul_f32_e32 v109, v109, v173                             // 00000000C9D4: 0ADB5B6D
	v_mul_f32_e32 v110, v110, v174                             // 00000000C9D8: 0ADD5D6E
	v_mul_f32_e32 v111, v111, v175                             // 00000000C9DC: 0ADF5F6F
	s_waitcnt vmcnt(12)                                        // 00000000C9E0: BF8C0F7C
	v_mul_f32_e64 v60, -v112, s6                               // 00000000C9E4: D105003C 20000D70
	v_mul_f32_e64 v61, -v113, s6                               // 00000000C9EC: D105003D 20000D71
	v_mul_f32_e64 v62, -v114, s6                               // 00000000C9F4: D105003E 20000D72
	v_mul_f32_e64 v63, -v115, s6                               // 00000000C9FC: D105003F 20000D73
	v_exp_f32_e32 v60, v60                                     // 00000000CA04: 7E78413C
	v_exp_f32_e32 v61, v61                                     // 00000000CA08: 7E7A413D
	v_exp_f32_e32 v62, v62                                     // 00000000CA0C: 7E7C413E
	v_exp_f32_e32 v63, v63                                     // 00000000CA10: 7E7E413F
	v_add_f32_e64 v60, v60, 1.0                                // 00000000CA14: D101003C 0001E53C
	v_add_f32_e64 v61, v61, 1.0                                // 00000000CA1C: D101003D 0001E53D
	v_add_f32_e64 v62, v62, 1.0                                // 00000000CA24: D101003E 0001E53E
	v_add_f32_e64 v63, v63, 1.0                                // 00000000CA2C: D101003F 0001E53F
	v_rcp_f32_e32 v60, v60                                     // 00000000CA34: 7E78453C
	v_rcp_f32_e32 v61, v61                                     // 00000000CA38: 7E7A453D
	v_rcp_f32_e32 v62, v62                                     // 00000000CA3C: 7E7C453E
	v_rcp_f32_e32 v63, v63                                     // 00000000CA40: 7E7E453F
	v_mul_f32_e32 v112, v112, v60                              // 00000000CA44: 0AE07970
	v_mul_f32_e32 v113, v113, v61                              // 00000000CA48: 0AE27B71
	v_mul_f32_e32 v114, v114, v62                              // 00000000CA4C: 0AE47D72
	v_mul_f32_e32 v115, v115, v63                              // 00000000CA50: 0AE67F73
	v_mul_f32_e32 v112, v112, v176                             // 00000000CA54: 0AE16170
	v_mul_f32_e32 v113, v113, v177                             // 00000000CA58: 0AE36371
	v_mul_f32_e32 v114, v114, v178                             // 00000000CA5C: 0AE56572
	v_mul_f32_e32 v115, v115, v179                             // 00000000CA60: 0AE76773
	v_mul_f32_e64 v60, -v116, s6                               // 00000000CA64: D105003C 20000D74
	v_mul_f32_e64 v61, -v117, s6                               // 00000000CA6C: D105003D 20000D75
	v_mul_f32_e64 v62, -v118, s6                               // 00000000CA74: D105003E 20000D76
	v_mul_f32_e64 v63, -v119, s6                               // 00000000CA7C: D105003F 20000D77
	v_exp_f32_e32 v60, v60                                     // 00000000CA84: 7E78413C
	v_exp_f32_e32 v61, v61                                     // 00000000CA88: 7E7A413D
	v_exp_f32_e32 v62, v62                                     // 00000000CA8C: 7E7C413E
	v_exp_f32_e32 v63, v63                                     // 00000000CA90: 7E7E413F
	v_add_f32_e64 v60, v60, 1.0                                // 00000000CA94: D101003C 0001E53C
	v_add_f32_e64 v61, v61, 1.0                                // 00000000CA9C: D101003D 0001E53D
	v_add_f32_e64 v62, v62, 1.0                                // 00000000CAA4: D101003E 0001E53E
	v_add_f32_e64 v63, v63, 1.0                                // 00000000CAAC: D101003F 0001E53F
	v_rcp_f32_e32 v60, v60                                     // 00000000CAB4: 7E78453C
	v_rcp_f32_e32 v61, v61                                     // 00000000CAB8: 7E7A453D
	v_rcp_f32_e32 v62, v62                                     // 00000000CABC: 7E7C453E
	v_rcp_f32_e32 v63, v63                                     // 00000000CAC0: 7E7E453F
	v_mul_f32_e32 v116, v116, v60                              // 00000000CAC4: 0AE87974
	v_mul_f32_e32 v117, v117, v61                              // 00000000CAC8: 0AEA7B75
	v_mul_f32_e32 v118, v118, v62                              // 00000000CACC: 0AEC7D76
	v_mul_f32_e32 v119, v119, v63                              // 00000000CAD0: 0AEE7F77
	v_mul_f32_e32 v116, v116, v180                             // 00000000CAD4: 0AE96974
	v_mul_f32_e32 v117, v117, v181                             // 00000000CAD8: 0AEB6B75
	v_mul_f32_e32 v118, v118, v182                             // 00000000CADC: 0AED6D76
	v_mul_f32_e32 v119, v119, v183                             // 00000000CAE0: 0AEF6F77
	s_waitcnt vmcnt(12)                                        // 00000000CAE4: BF8C0F7C
	v_mul_f32_e64 v60, -v120, s6                               // 00000000CAE8: D105003C 20000D78
	v_mul_f32_e64 v61, -v121, s6                               // 00000000CAF0: D105003D 20000D79
	v_mul_f32_e64 v62, -v122, s6                               // 00000000CAF8: D105003E 20000D7A
	v_mul_f32_e64 v63, -v123, s6                               // 00000000CB00: D105003F 20000D7B
	v_exp_f32_e32 v60, v60                                     // 00000000CB08: 7E78413C
	v_exp_f32_e32 v61, v61                                     // 00000000CB0C: 7E7A413D
	v_exp_f32_e32 v62, v62                                     // 00000000CB10: 7E7C413E
	v_exp_f32_e32 v63, v63                                     // 00000000CB14: 7E7E413F
	v_add_f32_e64 v60, v60, 1.0                                // 00000000CB18: D101003C 0001E53C
	v_add_f32_e64 v61, v61, 1.0                                // 00000000CB20: D101003D 0001E53D
	v_add_f32_e64 v62, v62, 1.0                                // 00000000CB28: D101003E 0001E53E
	v_add_f32_e64 v63, v63, 1.0                                // 00000000CB30: D101003F 0001E53F
	v_rcp_f32_e32 v60, v60                                     // 00000000CB38: 7E78453C
	v_rcp_f32_e32 v61, v61                                     // 00000000CB3C: 7E7A453D
	v_rcp_f32_e32 v62, v62                                     // 00000000CB40: 7E7C453E
	v_rcp_f32_e32 v63, v63                                     // 00000000CB44: 7E7E453F
	v_mul_f32_e32 v120, v120, v60                              // 00000000CB48: 0AF07978
	v_mul_f32_e32 v121, v121, v61                              // 00000000CB4C: 0AF27B79
	v_mul_f32_e32 v122, v122, v62                              // 00000000CB50: 0AF47D7A
	v_mul_f32_e32 v123, v123, v63                              // 00000000CB54: 0AF67F7B
	v_mul_f32_e32 v120, v120, v184                             // 00000000CB58: 0AF17178
	v_mul_f32_e32 v121, v121, v185                             // 00000000CB5C: 0AF37379
	v_mul_f32_e32 v122, v122, v186                             // 00000000CB60: 0AF5757A
	v_mul_f32_e32 v123, v123, v187                             // 00000000CB64: 0AF7777B
	v_mul_f32_e64 v60, -v124, s6                               // 00000000CB68: D105003C 20000D7C
	v_mul_f32_e64 v61, -v125, s6                               // 00000000CB70: D105003D 20000D7D
	v_mul_f32_e64 v62, -v126, s6                               // 00000000CB78: D105003E 20000D7E
	v_mul_f32_e64 v63, -v127, s6                               // 00000000CB80: D105003F 20000D7F
	v_exp_f32_e32 v60, v60                                     // 00000000CB88: 7E78413C
	v_exp_f32_e32 v61, v61                                     // 00000000CB8C: 7E7A413D
	v_exp_f32_e32 v62, v62                                     // 00000000CB90: 7E7C413E
	v_exp_f32_e32 v63, v63                                     // 00000000CB94: 7E7E413F
	v_add_f32_e64 v60, v60, 1.0                                // 00000000CB98: D101003C 0001E53C
	v_add_f32_e64 v61, v61, 1.0                                // 00000000CBA0: D101003D 0001E53D
	v_add_f32_e64 v62, v62, 1.0                                // 00000000CBA8: D101003E 0001E53E
	v_add_f32_e64 v63, v63, 1.0                                // 00000000CBB0: D101003F 0001E53F
	v_rcp_f32_e32 v60, v60                                     // 00000000CBB8: 7E78453C
	v_rcp_f32_e32 v61, v61                                     // 00000000CBBC: 7E7A453D
	v_rcp_f32_e32 v62, v62                                     // 00000000CBC0: 7E7C453E
	v_rcp_f32_e32 v63, v63                                     // 00000000CBC4: 7E7E453F
	v_mul_f32_e32 v124, v124, v60                              // 00000000CBC8: 0AF8797C
	v_mul_f32_e32 v125, v125, v61                              // 00000000CBCC: 0AFA7B7D
	v_mul_f32_e32 v126, v126, v62                              // 00000000CBD0: 0AFC7D7E
	v_mul_f32_e32 v127, v127, v63                              // 00000000CBD4: 0AFE7F7F
	v_mul_f32_e32 v124, v124, v188                             // 00000000CBD8: 0AF9797C
	v_mul_f32_e32 v125, v125, v189                             // 00000000CBDC: 0AFB7B7D
	v_mul_f32_e32 v126, v126, v190                             // 00000000CBE0: 0AFD7D7E
	v_mul_f32_e32 v127, v127, v191                             // 00000000CBE4: 0AFF7F7F
	buffer_load_dword v37, v8, s[16:19], 0 offen               // 00000000CBE8: E0501000 80042508
	v_mov_b32_e32 v192, 0x358637bd                             // 00000000CBF0: 7F8002FF 358637BD
	v_mov_b32_e32 v193, 0x358637bd                             // 00000000CBF8: 7F8202FF 358637BD
	v_mov_b32_e32 v194, 0x358637bd                             // 00000000CC00: 7F8402FF 358637BD
	v_mov_b32_e32 v195, 0x358637bd                             // 00000000CC08: 7F8602FF 358637BD
	v_max3_f32 v192, |v64|, |v65|, v192                        // 00000000CC10: D1D303C0 07028340
	v_max3_f32 v192, |v66|, |v67|, v192                        // 00000000CC18: D1D303C0 07028742
	v_max3_f32 v193, |v68|, |v69|, v193                        // 00000000CC20: D1D303C1 07068B44
	v_max3_f32 v193, |v70|, |v71|, v193                        // 00000000CC28: D1D303C1 07068F46
	v_max3_f32 v194, |v72|, |v73|, v194                        // 00000000CC30: D1D303C2 070A9348
	v_max3_f32 v194, |v74|, |v75|, v194                        // 00000000CC38: D1D303C2 070A974A
	v_max3_f32 v195, |v76|, |v77|, v195                        // 00000000CC40: D1D303C3 070E9B4C
	v_max3_f32 v195, |v78|, |v79|, v195                        // 00000000CC48: D1D303C3 070E9F4E
	v_max3_f32 v192, |v80|, |v81|, v192                        // 00000000CC50: D1D303C0 0702A350
	v_max3_f32 v192, |v82|, |v83|, v192                        // 00000000CC58: D1D303C0 0702A752
	v_max3_f32 v193, |v84|, |v85|, v193                        // 00000000CC60: D1D303C1 0706AB54
	v_max3_f32 v193, |v86|, |v87|, v193                        // 00000000CC68: D1D303C1 0706AF56
	v_max3_f32 v194, |v88|, |v89|, v194                        // 00000000CC70: D1D303C2 070AB358
	v_max3_f32 v194, |v90|, |v91|, v194                        // 00000000CC78: D1D303C2 070AB75A
	v_max3_f32 v195, |v92|, |v93|, v195                        // 00000000CC80: D1D303C3 070EBB5C
	v_max3_f32 v195, |v94|, |v95|, v195                        // 00000000CC88: D1D303C3 070EBF5E
	v_xor_b32_e32 v60, 32, v0                                  // 00000000CC90: 2A7800A0
	v_lshlrev_b32_e32 v60, 2, v60                              // 00000000CC94: 24787882
	s_nop 1                                                    // 00000000CC98: BF800001
	ds_bpermute_b32 v60, v60, v192                             // 00000000CC9C: D87E0000 3C00C03C
	s_waitcnt lgkmcnt(0)                                       // 00000000CCA4: BF8CC07F
	v_max_f32_e32 v192, v60, v192                              // 00000000CCA8: 1781813C
	v_xor_b32_e32 v60, 16, v0                                  // 00000000CCAC: 2A780090
	v_lshlrev_b32_e32 v60, 2, v60                              // 00000000CCB0: 24787882
	s_nop 1                                                    // 00000000CCB4: BF800001
	ds_bpermute_b32 v60, v60, v192                             // 00000000CCB8: D87E0000 3C00C03C
	s_waitcnt lgkmcnt(0)                                       // 00000000CCC0: BF8CC07F
	v_max_f32_e32 v192, v60, v192                              // 00000000CCC4: 1781813C
	v_xor_b32_e32 v60, 32, v0                                  // 00000000CCC8: 2A7800A0
	v_lshlrev_b32_e32 v60, 2, v60                              // 00000000CCCC: 24787882
	s_nop 1                                                    // 00000000CCD0: BF800001
	ds_bpermute_b32 v60, v60, v193                             // 00000000CCD4: D87E0000 3C00C13C
	s_waitcnt lgkmcnt(0)                                       // 00000000CCDC: BF8CC07F
	v_max_f32_e32 v193, v60, v193                              // 00000000CCE0: 1783833C
	v_xor_b32_e32 v60, 16, v0                                  // 00000000CCE4: 2A780090
	v_lshlrev_b32_e32 v60, 2, v60                              // 00000000CCE8: 24787882
	s_nop 1                                                    // 00000000CCEC: BF800001
	ds_bpermute_b32 v60, v60, v193                             // 00000000CCF0: D87E0000 3C00C13C
	s_waitcnt lgkmcnt(0)                                       // 00000000CCF8: BF8CC07F
	v_max_f32_e32 v193, v60, v193                              // 00000000CCFC: 1783833C
	v_xor_b32_e32 v60, 32, v0                                  // 00000000CD00: 2A7800A0
	v_lshlrev_b32_e32 v60, 2, v60                              // 00000000CD04: 24787882
	s_nop 1                                                    // 00000000CD08: BF800001
	ds_bpermute_b32 v60, v60, v194                             // 00000000CD0C: D87E0000 3C00C23C
	s_waitcnt lgkmcnt(0)                                       // 00000000CD14: BF8CC07F
	v_max_f32_e32 v194, v60, v194                              // 00000000CD18: 1785853C
	v_xor_b32_e32 v60, 16, v0                                  // 00000000CD1C: 2A780090
	v_lshlrev_b32_e32 v60, 2, v60                              // 00000000CD20: 24787882
	s_nop 1                                                    // 00000000CD24: BF800001
	ds_bpermute_b32 v60, v60, v194                             // 00000000CD28: D87E0000 3C00C23C
	s_waitcnt lgkmcnt(0)                                       // 00000000CD30: BF8CC07F
	v_max_f32_e32 v194, v60, v194                              // 00000000CD34: 1785853C
	v_xor_b32_e32 v60, 32, v0                                  // 00000000CD38: 2A7800A0
	v_lshlrev_b32_e32 v60, 2, v60                              // 00000000CD3C: 24787882
	s_nop 1                                                    // 00000000CD40: BF800001
	ds_bpermute_b32 v60, v60, v195                             // 00000000CD44: D87E0000 3C00C33C
	s_waitcnt lgkmcnt(0)                                       // 00000000CD4C: BF8CC07F
	v_max_f32_e32 v195, v60, v195                              // 00000000CD50: 1787873C
	v_xor_b32_e32 v60, 16, v0                                  // 00000000CD54: 2A780090
	v_lshlrev_b32_e32 v60, 2, v60                              // 00000000CD58: 24787882
	s_nop 1                                                    // 00000000CD5C: BF800001
	ds_bpermute_b32 v60, v60, v195                             // 00000000CD60: D87E0000 3C00C33C
	s_waitcnt lgkmcnt(0)                                       // 00000000CD68: BF8CC07F
	v_max_f32_e32 v195, v60, v195                              // 00000000CD6C: 1787873C
	v_lshlrev_b32_e32 v60, 2, v0                               // 00000000CD70: 24780082
	s_mul_i32 s56, 64, s7                                      // 00000000CD74: 923807C0
	v_add_u32_e32 v60, s56, v60                                // 00000000CD78: 68787838
	s_mov_b32 s56, 0xffff                                      // 00000000CD7C: BEB800FF 0000FFFF
	s_mov_b32 s57, 0                                           // 00000000CD84: BEB90080
	s_mov_b64 exec, s[56:57]                                   // 00000000CD88: BEFE0138
	ds_write_b32 v60, v192 offset:37120                        // 00000000CD8C: D81A9100 0000C03C
	ds_write_b32 v60, v193 offset:37376                        // 00000000CD94: D81A9200 0000C13C
	ds_write_b32 v60, v194 offset:37632                        // 00000000CD9C: D81A9300 0000C23C
	ds_write_b32 v60, v195 offset:37888                        // 00000000CDA4: D81A9400 0000C33C
	s_mov_b32 s56, -1                                          // 00000000CDAC: BEB800C1
	s_mov_b32 s57, -1                                          // 00000000CDB0: BEB900C1
	s_mov_b64 exec, s[56:57]                                   // 00000000CDB4: BEFE0138
	s_waitcnt lgkmcnt(0)                                       // 00000000CDB8: BF8CC07F
	s_barrier                                                  // 00000000CDBC: BF8A0000
	v_lshlrev_b32_e32 v60, 2, v0                               // 00000000CDC0: 24780082
	ds_read_b32 v252, v60 offset:37120                         // 00000000CDC4: D86C9100 FC00003C
	ds_read_b32 v253, v60 offset:37376                         // 00000000CDCC: D86C9200 FD00003C
	ds_read_b32 v254, v60 offset:37632                         // 00000000CDD4: D86C9300 FE00003C
	ds_read_b32 v255, v60 offset:37888                         // 00000000CDDC: D86C9400 FF00003C
	s_waitcnt lgkmcnt(0)                                       // 00000000CDE4: BF8CC07F
	v_xor_b32_e32 v60, 32, v0                                  // 00000000CDE8: 2A7800A0
	v_lshlrev_b32_e32 v60, 2, v60                              // 00000000CDEC: 24787882
	s_nop 1                                                    // 00000000CDF0: BF800001
	ds_bpermute_b32 v60, v60, v252                             // 00000000CDF4: D87E0000 3C00FC3C
	s_waitcnt lgkmcnt(0)                                       // 00000000CDFC: BF8CC07F
	v_max_f32_e32 v252, v60, v252                              // 00000000CE00: 17F9F93C
	v_xor_b32_e32 v60, 16, v0                                  // 00000000CE04: 2A780090
	v_lshlrev_b32_e32 v60, 2, v60                              // 00000000CE08: 24787882
	s_nop 1                                                    // 00000000CE0C: BF800001
	ds_bpermute_b32 v60, v60, v252                             // 00000000CE10: D87E0000 3C00FC3C
	s_waitcnt lgkmcnt(0)                                       // 00000000CE18: BF8CC07F
	v_max_f32_e32 v252, v60, v252                              // 00000000CE1C: 17F9F93C
	v_xor_b32_e32 v60, 32, v0                                  // 00000000CE20: 2A7800A0
	v_lshlrev_b32_e32 v60, 2, v60                              // 00000000CE24: 24787882
	s_nop 1                                                    // 00000000CE28: BF800001
	ds_bpermute_b32 v60, v60, v253                             // 00000000CE2C: D87E0000 3C00FD3C
	s_waitcnt lgkmcnt(0)                                       // 00000000CE34: BF8CC07F
	v_max_f32_e32 v253, v60, v253                              // 00000000CE38: 17FBFB3C
	v_xor_b32_e32 v60, 16, v0                                  // 00000000CE3C: 2A780090
	v_lshlrev_b32_e32 v60, 2, v60                              // 00000000CE40: 24787882
	s_nop 1                                                    // 00000000CE44: BF800001
	ds_bpermute_b32 v60, v60, v253                             // 00000000CE48: D87E0000 3C00FD3C
	s_waitcnt lgkmcnt(0)                                       // 00000000CE50: BF8CC07F
	v_max_f32_e32 v253, v60, v253                              // 00000000CE54: 17FBFB3C
	v_xor_b32_e32 v60, 32, v0                                  // 00000000CE58: 2A7800A0
	v_lshlrev_b32_e32 v60, 2, v60                              // 00000000CE5C: 24787882
	s_nop 1                                                    // 00000000CE60: BF800001
	ds_bpermute_b32 v60, v60, v254                             // 00000000CE64: D87E0000 3C00FE3C
	s_waitcnt lgkmcnt(0)                                       // 00000000CE6C: BF8CC07F
	v_max_f32_e32 v254, v60, v254                              // 00000000CE70: 17FDFD3C
	v_xor_b32_e32 v60, 16, v0                                  // 00000000CE74: 2A780090
	v_lshlrev_b32_e32 v60, 2, v60                              // 00000000CE78: 24787882
	s_nop 1                                                    // 00000000CE7C: BF800001
	ds_bpermute_b32 v60, v60, v254                             // 00000000CE80: D87E0000 3C00FE3C
	s_waitcnt lgkmcnt(0)                                       // 00000000CE88: BF8CC07F
	v_max_f32_e32 v254, v60, v254                              // 00000000CE8C: 17FDFD3C
	v_xor_b32_e32 v60, 32, v0                                  // 00000000CE90: 2A7800A0
	v_lshlrev_b32_e32 v60, 2, v60                              // 00000000CE94: 24787882
	s_nop 1                                                    // 00000000CE98: BF800001
	ds_bpermute_b32 v60, v60, v255                             // 00000000CE9C: D87E0000 3C00FF3C
	s_waitcnt lgkmcnt(0)                                       // 00000000CEA4: BF8CC07F
	v_max_f32_e32 v255, v60, v255                              // 00000000CEA8: 17FFFF3C
	v_xor_b32_e32 v60, 16, v0                                  // 00000000CEAC: 2A780090
	v_lshlrev_b32_e32 v60, 2, v60                              // 00000000CEB0: 24787882
	s_nop 1                                                    // 00000000CEB4: BF800001
	ds_bpermute_b32 v60, v60, v255                             // 00000000CEB8: D87E0000 3C00FF3C
	s_waitcnt lgkmcnt(0)                                       // 00000000CEC0: BF8CC07F
	v_max_f32_e32 v255, v60, v255                              // 00000000CEC4: 17FFFF3C
	v_max_f32_e32 v192, v252, v192                             // 00000000CEC8: 178181FC
	v_max_f32_e32 v193, v253, v193                             // 00000000CECC: 178383FD
	v_max_f32_e32 v194, v254, v194                             // 00000000CED0: 178585FE
	v_max_f32_e32 v195, v255, v195                             // 00000000CED4: 178787FF
	v_rcp_f32_e32 v192, v192                                   // 00000000CED8: 7F8045C0
	v_rcp_f32_e32 v193, v193                                   // 00000000CEDC: 7F8245C1
	v_rcp_f32_e32 v194, v194                                   // 00000000CEE0: 7F8445C2
	v_rcp_f32_e32 v195, v195                                   // 00000000CEE4: 7F8645C3
	v_mov_b32_e32 v60, 0x43700000                              // 00000000CEE8: 7E7802FF 43700000
	v_mul_f32_e32 v192, v60, v192                              // 00000000CEF0: 0B81813C
	v_mul_f32_e32 v193, v60, v193                              // 00000000CEF4: 0B83833C
	v_mul_f32_e32 v194, v60, v194                              // 00000000CEF8: 0B85853C
	v_mul_f32_e32 v195, v60, v195                              // 00000000CEFC: 0B87873C
	v_mul_f32_e32 v64, v192, v64                               // 00000000CF00: 0A8081C0
	v_mul_f32_e32 v65, v192, v65                               // 00000000CF04: 0A8283C0
	v_mul_f32_e32 v66, v192, v66                               // 00000000CF08: 0A8485C0
	v_mul_f32_e32 v67, v192, v67                               // 00000000CF0C: 0A8687C0
	v_cvt_pk_fp8_f32 v64, v64, v65                             // 00000000CF10: D2A20040 00028340
	v_cvt_pk_fp8_f32 v64, v66, v67 op_sel:[0,0,1]              // 00000000CF18: D2A24040 00028742
	v_mul_f32_e32 v68, v193, v68                               // 00000000CF20: 0A8889C1
	v_mul_f32_e32 v69, v193, v69                               // 00000000CF24: 0A8A8BC1
	v_mul_f32_e32 v70, v193, v70                               // 00000000CF28: 0A8C8DC1
	v_mul_f32_e32 v71, v193, v71                               // 00000000CF2C: 0A8E8FC1
	v_cvt_pk_fp8_f32 v65, v68, v69                             // 00000000CF30: D2A20041 00028B44
	v_cvt_pk_fp8_f32 v65, v70, v71 op_sel:[0,0,1]              // 00000000CF38: D2A24041 00028F46
	v_mul_f32_e32 v72, v194, v72                               // 00000000CF40: 0A9091C2
	v_mul_f32_e32 v73, v194, v73                               // 00000000CF44: 0A9293C2
	v_mul_f32_e32 v74, v194, v74                               // 00000000CF48: 0A9495C2
	v_mul_f32_e32 v75, v194, v75                               // 00000000CF4C: 0A9697C2
	v_cvt_pk_fp8_f32 v66, v72, v73                             // 00000000CF50: D2A20042 00029348
	v_cvt_pk_fp8_f32 v66, v74, v75 op_sel:[0,0,1]              // 00000000CF58: D2A24042 0002974A
	v_mul_f32_e32 v76, v195, v76                               // 00000000CF60: 0A9899C3
	v_mul_f32_e32 v77, v195, v77                               // 00000000CF64: 0A9A9BC3
	v_mul_f32_e32 v78, v195, v78                               // 00000000CF68: 0A9C9DC3
	v_mul_f32_e32 v79, v195, v79                               // 00000000CF6C: 0A9E9FC3
	v_cvt_pk_fp8_f32 v67, v76, v77                             // 00000000CF70: D2A20043 00029B4C
	v_cvt_pk_fp8_f32 v67, v78, v79 op_sel:[0,0,1]              // 00000000CF78: D2A24043 00029F4E
	v_mul_f32_e32 v80, v192, v80                               // 00000000CF80: 0AA0A1C0
	v_mul_f32_e32 v81, v192, v81                               // 00000000CF84: 0AA2A3C0
	v_mul_f32_e32 v82, v192, v82                               // 00000000CF88: 0AA4A5C0
	v_mul_f32_e32 v83, v192, v83                               // 00000000CF8C: 0AA6A7C0
	v_cvt_pk_fp8_f32 v68, v80, v81                             // 00000000CF90: D2A20044 0002A350
	v_cvt_pk_fp8_f32 v68, v82, v83 op_sel:[0,0,1]              // 00000000CF98: D2A24044 0002A752
	v_mul_f32_e32 v84, v193, v84                               // 00000000CFA0: 0AA8A9C1
	v_mul_f32_e32 v85, v193, v85                               // 00000000CFA4: 0AAAABC1
	v_mul_f32_e32 v86, v193, v86                               // 00000000CFA8: 0AACADC1
	v_mul_f32_e32 v87, v193, v87                               // 00000000CFAC: 0AAEAFC1
	v_cvt_pk_fp8_f32 v69, v84, v85                             // 00000000CFB0: D2A20045 0002AB54
	v_cvt_pk_fp8_f32 v69, v86, v87 op_sel:[0,0,1]              // 00000000CFB8: D2A24045 0002AF56
	v_mul_f32_e32 v88, v194, v88                               // 00000000CFC0: 0AB0B1C2
	v_mul_f32_e32 v89, v194, v89                               // 00000000CFC4: 0AB2B3C2
	v_mul_f32_e32 v90, v194, v90                               // 00000000CFC8: 0AB4B5C2
	v_mul_f32_e32 v91, v194, v91                               // 00000000CFCC: 0AB6B7C2
	v_cvt_pk_fp8_f32 v70, v88, v89                             // 00000000CFD0: D2A20046 0002B358
	v_cvt_pk_fp8_f32 v70, v90, v91 op_sel:[0,0,1]              // 00000000CFD8: D2A24046 0002B75A
	v_mul_f32_e32 v92, v195, v92                               // 00000000CFE0: 0AB8B9C3
	v_mul_f32_e32 v93, v195, v93                               // 00000000CFE4: 0ABABBC3
	v_mul_f32_e32 v94, v195, v94                               // 00000000CFE8: 0ABCBDC3
	v_mul_f32_e32 v95, v195, v95                               // 00000000CFEC: 0ABEBFC3
	v_cvt_pk_fp8_f32 v71, v92, v93                             // 00000000CFF0: D2A20047 0002BB5C
	v_cvt_pk_fp8_f32 v71, v94, v95 op_sel:[0,0,1]              // 00000000CFF8: D2A24047 0002BF5E
	v_rcp_f32_e32 v21, v192                                    // 00000000D000: 7E2A45C0
	v_rcp_f32_e32 v22, v193                                    // 00000000D004: 7E2C45C1
	v_rcp_f32_e32 v23, v194                                    // 00000000D008: 7E2E45C2
	v_rcp_f32_e32 v24, v195                                    // 00000000D00C: 7E3045C3
	v_mov_b32_e32 v196, 0x358637bd                             // 00000000D010: 7F8802FF 358637BD
	v_mov_b32_e32 v197, 0x358637bd                             // 00000000D018: 7F8A02FF 358637BD
	v_mov_b32_e32 v198, 0x358637bd                             // 00000000D020: 7F8C02FF 358637BD
	v_mov_b32_e32 v199, 0x358637bd                             // 00000000D028: 7F8E02FF 358637BD
	v_max3_f32 v196, |v96|, |v97|, v196                        // 00000000D030: D1D303C4 0712C360
	v_max3_f32 v196, |v98|, |v99|, v196                        // 00000000D038: D1D303C4 0712C762
	v_max3_f32 v197, |v100|, |v101|, v197                      // 00000000D040: D1D303C5 0716CB64
	v_max3_f32 v197, |v102|, |v103|, v197                      // 00000000D048: D1D303C5 0716CF66
	v_max3_f32 v198, |v104|, |v105|, v198                      // 00000000D050: D1D303C6 071AD368
	v_max3_f32 v198, |v106|, |v107|, v198                      // 00000000D058: D1D303C6 071AD76A
	v_max3_f32 v199, |v108|, |v109|, v199                      // 00000000D060: D1D303C7 071EDB6C
	v_max3_f32 v199, |v110|, |v111|, v199                      // 00000000D068: D1D303C7 071EDF6E
	v_max3_f32 v196, |v112|, |v113|, v196                      // 00000000D070: D1D303C4 0712E370
	v_max3_f32 v196, |v114|, |v115|, v196                      // 00000000D078: D1D303C4 0712E772
	v_max3_f32 v197, |v116|, |v117|, v197                      // 00000000D080: D1D303C5 0716EB74
	v_max3_f32 v197, |v118|, |v119|, v197                      // 00000000D088: D1D303C5 0716EF76
	v_max3_f32 v198, |v120|, |v121|, v198                      // 00000000D090: D1D303C6 071AF378
	v_max3_f32 v198, |v122|, |v123|, v198                      // 00000000D098: D1D303C6 071AF77A
	v_max3_f32 v199, |v124|, |v125|, v199                      // 00000000D0A0: D1D303C7 071EFB7C
	v_max3_f32 v199, |v126|, |v127|, v199                      // 00000000D0A8: D1D303C7 071EFF7E
	v_xor_b32_e32 v60, 32, v0                                  // 00000000D0B0: 2A7800A0
	v_lshlrev_b32_e32 v60, 2, v60                              // 00000000D0B4: 24787882
	s_nop 1                                                    // 00000000D0B8: BF800001
	ds_bpermute_b32 v60, v60, v196                             // 00000000D0BC: D87E0000 3C00C43C
	s_waitcnt lgkmcnt(0)                                       // 00000000D0C4: BF8CC07F
	v_max_f32_e32 v196, v60, v196                              // 00000000D0C8: 1789893C
	v_xor_b32_e32 v60, 16, v0                                  // 00000000D0CC: 2A780090
	v_lshlrev_b32_e32 v60, 2, v60                              // 00000000D0D0: 24787882
	s_nop 1                                                    // 00000000D0D4: BF800001
	ds_bpermute_b32 v60, v60, v196                             // 00000000D0D8: D87E0000 3C00C43C
	s_waitcnt lgkmcnt(0)                                       // 00000000D0E0: BF8CC07F
	v_max_f32_e32 v196, v60, v196                              // 00000000D0E4: 1789893C
	v_xor_b32_e32 v60, 32, v0                                  // 00000000D0E8: 2A7800A0
	v_lshlrev_b32_e32 v60, 2, v60                              // 00000000D0EC: 24787882
	s_nop 1                                                    // 00000000D0F0: BF800001
	ds_bpermute_b32 v60, v60, v197                             // 00000000D0F4: D87E0000 3C00C53C
	s_waitcnt lgkmcnt(0)                                       // 00000000D0FC: BF8CC07F
	v_max_f32_e32 v197, v60, v197                              // 00000000D100: 178B8B3C
	v_xor_b32_e32 v60, 16, v0                                  // 00000000D104: 2A780090
	v_lshlrev_b32_e32 v60, 2, v60                              // 00000000D108: 24787882
	s_nop 1                                                    // 00000000D10C: BF800001
	ds_bpermute_b32 v60, v60, v197                             // 00000000D110: D87E0000 3C00C53C
	s_waitcnt lgkmcnt(0)                                       // 00000000D118: BF8CC07F
	v_max_f32_e32 v197, v60, v197                              // 00000000D11C: 178B8B3C
	v_xor_b32_e32 v60, 32, v0                                  // 00000000D120: 2A7800A0
	v_lshlrev_b32_e32 v60, 2, v60                              // 00000000D124: 24787882
	s_nop 1                                                    // 00000000D128: BF800001
	ds_bpermute_b32 v60, v60, v198                             // 00000000D12C: D87E0000 3C00C63C
	s_waitcnt lgkmcnt(0)                                       // 00000000D134: BF8CC07F
	v_max_f32_e32 v198, v60, v198                              // 00000000D138: 178D8D3C
	v_xor_b32_e32 v60, 16, v0                                  // 00000000D13C: 2A780090
	v_lshlrev_b32_e32 v60, 2, v60                              // 00000000D140: 24787882
	s_nop 1                                                    // 00000000D144: BF800001
	ds_bpermute_b32 v60, v60, v198                             // 00000000D148: D87E0000 3C00C63C
	s_waitcnt lgkmcnt(0)                                       // 00000000D150: BF8CC07F
	v_max_f32_e32 v198, v60, v198                              // 00000000D154: 178D8D3C
	v_xor_b32_e32 v60, 32, v0                                  // 00000000D158: 2A7800A0
	v_lshlrev_b32_e32 v60, 2, v60                              // 00000000D15C: 24787882
	s_nop 1                                                    // 00000000D160: BF800001
	ds_bpermute_b32 v60, v60, v199                             // 00000000D164: D87E0000 3C00C73C
	s_waitcnt lgkmcnt(0)                                       // 00000000D16C: BF8CC07F
	v_max_f32_e32 v199, v60, v199                              // 00000000D170: 178F8F3C
	v_xor_b32_e32 v60, 16, v0                                  // 00000000D174: 2A780090
	v_lshlrev_b32_e32 v60, 2, v60                              // 00000000D178: 24787882
	s_nop 1                                                    // 00000000D17C: BF800001
	ds_bpermute_b32 v60, v60, v199                             // 00000000D180: D87E0000 3C00C73C
	s_waitcnt lgkmcnt(0)                                       // 00000000D188: BF8CC07F
	v_max_f32_e32 v199, v60, v199                              // 00000000D18C: 178F8F3C
	v_lshlrev_b32_e32 v60, 2, v0                               // 00000000D190: 24780082
	s_mul_i32 s56, 64, s7                                      // 00000000D194: 923807C0
	v_add_u32_e32 v60, s56, v60                                // 00000000D198: 68787838
	s_mov_b32 s56, 0xffff                                      // 00000000D19C: BEB800FF 0000FFFF
	s_mov_b32 s57, 0                                           // 00000000D1A4: BEB90080
	s_mov_b64 exec, s[56:57]                                   // 00000000D1A8: BEFE0138
	ds_write_b32 v60, v196 offset:37120                        // 00000000D1AC: D81A9100 0000C43C
	ds_write_b32 v60, v197 offset:37376                        // 00000000D1B4: D81A9200 0000C53C
	ds_write_b32 v60, v198 offset:37632                        // 00000000D1BC: D81A9300 0000C63C
	ds_write_b32 v60, v199 offset:37888                        // 00000000D1C4: D81A9400 0000C73C
	s_mov_b32 s56, -1                                          // 00000000D1CC: BEB800C1
	s_mov_b32 s57, -1                                          // 00000000D1D0: BEB900C1
	s_mov_b64 exec, s[56:57]                                   // 00000000D1D4: BEFE0138
	s_waitcnt lgkmcnt(0)                                       // 00000000D1D8: BF8CC07F
	s_barrier                                                  // 00000000D1DC: BF8A0000
	v_lshlrev_b32_e32 v60, 2, v0                               // 00000000D1E0: 24780082
	ds_read_b32 v252, v60 offset:37120                         // 00000000D1E4: D86C9100 FC00003C
	ds_read_b32 v253, v60 offset:37376                         // 00000000D1EC: D86C9200 FD00003C
	ds_read_b32 v254, v60 offset:37632                         // 00000000D1F4: D86C9300 FE00003C
	ds_read_b32 v255, v60 offset:37888                         // 00000000D1FC: D86C9400 FF00003C
	s_waitcnt lgkmcnt(0)                                       // 00000000D204: BF8CC07F
	v_xor_b32_e32 v60, 32, v0                                  // 00000000D208: 2A7800A0
	v_lshlrev_b32_e32 v60, 2, v60                              // 00000000D20C: 24787882
	s_nop 1                                                    // 00000000D210: BF800001
	ds_bpermute_b32 v60, v60, v252                             // 00000000D214: D87E0000 3C00FC3C
	s_waitcnt lgkmcnt(0)                                       // 00000000D21C: BF8CC07F
	v_max_f32_e32 v252, v60, v252                              // 00000000D220: 17F9F93C
	v_xor_b32_e32 v60, 16, v0                                  // 00000000D224: 2A780090
	v_lshlrev_b32_e32 v60, 2, v60                              // 00000000D228: 24787882
	s_nop 1                                                    // 00000000D22C: BF800001
	ds_bpermute_b32 v60, v60, v252                             // 00000000D230: D87E0000 3C00FC3C
	s_waitcnt lgkmcnt(0)                                       // 00000000D238: BF8CC07F
	v_max_f32_e32 v252, v60, v252                              // 00000000D23C: 17F9F93C
	v_xor_b32_e32 v60, 32, v0                                  // 00000000D240: 2A7800A0
	v_lshlrev_b32_e32 v60, 2, v60                              // 00000000D244: 24787882
	s_nop 1                                                    // 00000000D248: BF800001
	ds_bpermute_b32 v60, v60, v253                             // 00000000D24C: D87E0000 3C00FD3C
	s_waitcnt lgkmcnt(0)                                       // 00000000D254: BF8CC07F
	v_max_f32_e32 v253, v60, v253                              // 00000000D258: 17FBFB3C
	v_xor_b32_e32 v60, 16, v0                                  // 00000000D25C: 2A780090
	v_lshlrev_b32_e32 v60, 2, v60                              // 00000000D260: 24787882
	s_nop 1                                                    // 00000000D264: BF800001
	ds_bpermute_b32 v60, v60, v253                             // 00000000D268: D87E0000 3C00FD3C
	s_waitcnt lgkmcnt(0)                                       // 00000000D270: BF8CC07F
	v_max_f32_e32 v253, v60, v253                              // 00000000D274: 17FBFB3C
	v_xor_b32_e32 v60, 32, v0                                  // 00000000D278: 2A7800A0
	v_lshlrev_b32_e32 v60, 2, v60                              // 00000000D27C: 24787882
	s_nop 1                                                    // 00000000D280: BF800001
	ds_bpermute_b32 v60, v60, v254                             // 00000000D284: D87E0000 3C00FE3C
	s_waitcnt lgkmcnt(0)                                       // 00000000D28C: BF8CC07F
	v_max_f32_e32 v254, v60, v254                              // 00000000D290: 17FDFD3C
	v_xor_b32_e32 v60, 16, v0                                  // 00000000D294: 2A780090
	v_lshlrev_b32_e32 v60, 2, v60                              // 00000000D298: 24787882
	s_nop 1                                                    // 00000000D29C: BF800001
	ds_bpermute_b32 v60, v60, v254                             // 00000000D2A0: D87E0000 3C00FE3C
	s_waitcnt lgkmcnt(0)                                       // 00000000D2A8: BF8CC07F
	v_max_f32_e32 v254, v60, v254                              // 00000000D2AC: 17FDFD3C
	v_xor_b32_e32 v60, 32, v0                                  // 00000000D2B0: 2A7800A0
	v_lshlrev_b32_e32 v60, 2, v60                              // 00000000D2B4: 24787882
	s_nop 1                                                    // 00000000D2B8: BF800001
	ds_bpermute_b32 v60, v60, v255                             // 00000000D2BC: D87E0000 3C00FF3C
	s_waitcnt lgkmcnt(0)                                       // 00000000D2C4: BF8CC07F
	v_max_f32_e32 v255, v60, v255                              // 00000000D2C8: 17FFFF3C
	v_xor_b32_e32 v60, 16, v0                                  // 00000000D2CC: 2A780090
	v_lshlrev_b32_e32 v60, 2, v60                              // 00000000D2D0: 24787882
	s_nop 1                                                    // 00000000D2D4: BF800001
	ds_bpermute_b32 v60, v60, v255                             // 00000000D2D8: D87E0000 3C00FF3C
	s_waitcnt lgkmcnt(0)                                       // 00000000D2E0: BF8CC07F
	v_max_f32_e32 v255, v60, v255                              // 00000000D2E4: 17FFFF3C
	v_max_f32_e32 v196, v252, v196                             // 00000000D2E8: 178989FC
	v_max_f32_e32 v197, v253, v197                             // 00000000D2EC: 178B8BFD
	v_max_f32_e32 v198, v254, v198                             // 00000000D2F0: 178D8DFE
	v_max_f32_e32 v199, v255, v199                             // 00000000D2F4: 178F8FFF
	v_rcp_f32_e32 v196, v196                                   // 00000000D2F8: 7F8845C4
	v_rcp_f32_e32 v197, v197                                   // 00000000D2FC: 7F8A45C5
	v_rcp_f32_e32 v198, v198                                   // 00000000D300: 7F8C45C6
	v_rcp_f32_e32 v199, v199                                   // 00000000D304: 7F8E45C7
	v_mov_b32_e32 v60, 0x43700000                              // 00000000D308: 7E7802FF 43700000
	v_mul_f32_e32 v196, v60, v196                              // 00000000D310: 0B89893C
	v_mul_f32_e32 v197, v60, v197                              // 00000000D314: 0B8B8B3C
	v_mul_f32_e32 v198, v60, v198                              // 00000000D318: 0B8D8D3C
	v_mul_f32_e32 v199, v60, v199                              // 00000000D31C: 0B8F8F3C
	v_mul_f32_e32 v96, v196, v96                               // 00000000D320: 0AC0C1C4
	v_mul_f32_e32 v97, v196, v97                               // 00000000D324: 0AC2C3C4
	v_mul_f32_e32 v98, v196, v98                               // 00000000D328: 0AC4C5C4
	v_mul_f32_e32 v99, v196, v99                               // 00000000D32C: 0AC6C7C4
	v_cvt_pk_fp8_f32 v72, v96, v97                             // 00000000D330: D2A20048 0002C360
	v_cvt_pk_fp8_f32 v72, v98, v99 op_sel:[0,0,1]              // 00000000D338: D2A24048 0002C762
	v_mul_f32_e32 v100, v197, v100                             // 00000000D340: 0AC8C9C5
	v_mul_f32_e32 v101, v197, v101                             // 00000000D344: 0ACACBC5
	v_mul_f32_e32 v102, v197, v102                             // 00000000D348: 0ACCCDC5
	v_mul_f32_e32 v103, v197, v103                             // 00000000D34C: 0ACECFC5
	v_cvt_pk_fp8_f32 v73, v100, v101                           // 00000000D350: D2A20049 0002CB64
	v_cvt_pk_fp8_f32 v73, v102, v103 op_sel:[0,0,1]            // 00000000D358: D2A24049 0002CF66
	v_mul_f32_e32 v104, v198, v104                             // 00000000D360: 0AD0D1C6
	v_mul_f32_e32 v105, v198, v105                             // 00000000D364: 0AD2D3C6
	v_mul_f32_e32 v106, v198, v106                             // 00000000D368: 0AD4D5C6
	v_mul_f32_e32 v107, v198, v107                             // 00000000D36C: 0AD6D7C6
	v_cvt_pk_fp8_f32 v74, v104, v105                           // 00000000D370: D2A2004A 0002D368
	v_cvt_pk_fp8_f32 v74, v106, v107 op_sel:[0,0,1]            // 00000000D378: D2A2404A 0002D76A
	v_mul_f32_e32 v108, v199, v108                             // 00000000D380: 0AD8D9C7
	v_mul_f32_e32 v109, v199, v109                             // 00000000D384: 0ADADBC7
	v_mul_f32_e32 v110, v199, v110                             // 00000000D388: 0ADCDDC7
	v_mul_f32_e32 v111, v199, v111                             // 00000000D38C: 0ADEDFC7
	v_cvt_pk_fp8_f32 v75, v108, v109                           // 00000000D390: D2A2004B 0002DB6C
	v_cvt_pk_fp8_f32 v75, v110, v111 op_sel:[0,0,1]            // 00000000D398: D2A2404B 0002DF6E
	v_mul_f32_e32 v112, v196, v112                             // 00000000D3A0: 0AE0E1C4
	v_mul_f32_e32 v113, v196, v113                             // 00000000D3A4: 0AE2E3C4
	v_mul_f32_e32 v114, v196, v114                             // 00000000D3A8: 0AE4E5C4
	v_mul_f32_e32 v115, v196, v115                             // 00000000D3AC: 0AE6E7C4
	v_cvt_pk_fp8_f32 v76, v112, v113                           // 00000000D3B0: D2A2004C 0002E370
	v_cvt_pk_fp8_f32 v76, v114, v115 op_sel:[0,0,1]            // 00000000D3B8: D2A2404C 0002E772
	v_mul_f32_e32 v116, v197, v116                             // 00000000D3C0: 0AE8E9C5
	v_mul_f32_e32 v117, v197, v117                             // 00000000D3C4: 0AEAEBC5
	v_mul_f32_e32 v118, v197, v118                             // 00000000D3C8: 0AECEDC5
	v_mul_f32_e32 v119, v197, v119                             // 00000000D3CC: 0AEEEFC5
	v_cvt_pk_fp8_f32 v77, v116, v117                           // 00000000D3D0: D2A2004D 0002EB74
	v_cvt_pk_fp8_f32 v77, v118, v119 op_sel:[0,0,1]            // 00000000D3D8: D2A2404D 0002EF76
	v_mul_f32_e32 v120, v198, v120                             // 00000000D3E0: 0AF0F1C6
	v_mul_f32_e32 v121, v198, v121                             // 00000000D3E4: 0AF2F3C6
	v_mul_f32_e32 v122, v198, v122                             // 00000000D3E8: 0AF4F5C6
	v_mul_f32_e32 v123, v198, v123                             // 00000000D3EC: 0AF6F7C6
	v_cvt_pk_fp8_f32 v78, v120, v121                           // 00000000D3F0: D2A2004E 0002F378
	v_cvt_pk_fp8_f32 v78, v122, v123 op_sel:[0,0,1]            // 00000000D3F8: D2A2404E 0002F77A
	v_mul_f32_e32 v124, v199, v124                             // 00000000D400: 0AF8F9C7
	v_mul_f32_e32 v125, v199, v125                             // 00000000D404: 0AFAFBC7
	v_mul_f32_e32 v126, v199, v126                             // 00000000D408: 0AFCFDC7
	v_mul_f32_e32 v127, v199, v127                             // 00000000D40C: 0AFEFFC7
	v_cvt_pk_fp8_f32 v79, v124, v125                           // 00000000D410: D2A2004F 0002FB7C
	v_cvt_pk_fp8_f32 v79, v126, v127 op_sel:[0,0,1]            // 00000000D418: D2A2404F 0002FF7E
	v_rcp_f32_e32 v25, v196                                    // 00000000D420: 7E3245C4
	v_rcp_f32_e32 v26, v197                                    // 00000000D424: 7E3445C5
	v_rcp_f32_e32 v27, v198                                    // 00000000D428: 7E3645C6
	v_rcp_f32_e32 v28, v199                                    // 00000000D42C: 7E3845C7
	v_lshrrev_b32_e32 v60, 5, v0                               // 00000000D430: 20780085
	v_lshlrev_b32_e32 v61, 5, v60                              // 00000000D434: 247A7885
	v_and_b32_e32 v60, 31, v0                                  // 00000000D438: 2678009F
	v_lshrrev_b32_e32 v62, 4, v60                              // 00000000D43C: 207C7884
	v_add_u32_e32 v61, v62, v61                                // 00000000D440: 687A7B3E
	v_and_b32_e32 v60, 15, v0                                  // 00000000D444: 2678008F
	v_lshlrev_b32_e32 v60, 1, v60                              // 00000000D448: 24787881
	v_add_u32_e32 v61, v60, v61                                // 00000000D44C: 687A7B3C
	v_lshlrev_b32_e32 v60, 2, v61                              // 00000000D450: 24787A82
	s_mul_i32 s56, 0x100, s7                                   // 00000000D454: 923807FF 00000100
	v_add_u32_e64 v60, v60, s56                                // 00000000D45C: D134003C 0000713C
	ds_write_b32 v60, v64 offset:41216                         // 00000000D464: D81AA100 0000403C
	ds_write_b32 v60, v65 offset:45312                         // 00000000D46C: D81AB100 0000413C
	ds_write_b32 v60, v66 offset:49408                         // 00000000D474: D81AC100 0000423C
	ds_write_b32 v60, v67 offset:53504                         // 00000000D47C: D81AD100 0000433C
	ds_write_b32 v60, v68 offset:42240                         // 00000000D484: D81AA500 0000443C
	ds_write_b32 v60, v69 offset:46336                         // 00000000D48C: D81AB500 0000453C
	ds_write_b32 v60, v70 offset:50432                         // 00000000D494: D81AC500 0000463C
	ds_write_b32 v60, v71 offset:54528                         // 00000000D49C: D81AD500 0000473C
	ds_write_b32 v60, v72 offset:43264                         // 00000000D4A4: D81AA900 0000483C
	ds_write_b32 v60, v73 offset:47360                         // 00000000D4AC: D81AB900 0000493C
	ds_write_b32 v60, v74 offset:51456                         // 00000000D4B4: D81AC900 00004A3C
	ds_write_b32 v60, v75 offset:55552                         // 00000000D4BC: D81AD900 00004B3C
	ds_write_b32 v60, v76 offset:44288                         // 00000000D4C4: D81AAD00 00004C3C
	ds_write_b32 v60, v77 offset:48384                         // 00000000D4CC: D81ABD00 00004D3C
	ds_write_b32 v60, v78 offset:52480                         // 00000000D4D4: D81ACD00 00004E3C
	ds_write_b32 v60, v79 offset:56576                         // 00000000D4DC: D81ADD00 00004F3C
	s_waitcnt lgkmcnt(0)                                       // 00000000D4E4: BF8CC07F
	s_barrier                                                  // 00000000D4E8: BF8A0000
	v_lshrrev_b32_e32 v60, 4, v0                               // 00000000D4EC: 20780084
	v_lshlrev_b32_e32 v61, 6, v60                              // 00000000D4F0: 247A7886
	v_and_b32_e32 v60, 15, v0                                  // 00000000D4F4: 2678008F
	v_lshlrev_b32_e32 v60, 1, v60                              // 00000000D4F8: 24787881
	v_add_u32_e32 v61, v60, v61                                // 00000000D4FC: 687A7B3C
	v_lshlrev_b32_e32 v60, 2, v61                              // 00000000D500: 24787A82
	ds_read_b64 a[128:129], v60 offset:41216                   // 00000000D504: DAECA100 8000003C
	ds_read_b64 a[130:131], v60 offset:41344                   // 00000000D50C: DAECA180 8200003C
	ds_read_b64 a[132:133], v60 offset:42240                   // 00000000D514: DAECA500 8400003C
	ds_read_b64 a[134:135], v60 offset:42368                   // 00000000D51C: DAECA580 8600003C
	ds_read_b64 a[136:137], v60 offset:43264                   // 00000000D524: DAECA900 8800003C
	ds_read_b64 a[138:139], v60 offset:43392                   // 00000000D52C: DAECA980 8A00003C
	ds_read_b64 a[140:141], v60 offset:44288                   // 00000000D534: DAECAD00 8C00003C
	ds_read_b64 a[142:143], v60 offset:44416                   // 00000000D53C: DAECAD80 8E00003C
	ds_read_b64 a[144:145], v60 offset:45312                   // 00000000D544: DAECB100 9000003C
	ds_read_b64 a[146:147], v60 offset:45440                   // 00000000D54C: DAECB180 9200003C
	ds_read_b64 a[148:149], v60 offset:46336                   // 00000000D554: DAECB500 9400003C
	ds_read_b64 a[150:151], v60 offset:46464                   // 00000000D55C: DAECB580 9600003C
	ds_read_b64 a[152:153], v60 offset:47360                   // 00000000D564: DAECB900 9800003C
	ds_read_b64 a[154:155], v60 offset:47488                   // 00000000D56C: DAECB980 9A00003C
	ds_read_b64 a[156:157], v60 offset:48384                   // 00000000D574: DAECBD00 9C00003C
	ds_read_b64 a[158:159], v60 offset:48512                   // 00000000D57C: DAECBD80 9E00003C
	ds_read_b64 a[160:161], v60 offset:49408                   // 00000000D584: DAECC100 A000003C
	ds_read_b64 a[162:163], v60 offset:49536                   // 00000000D58C: DAECC180 A200003C
	ds_read_b64 a[164:165], v60 offset:50432                   // 00000000D594: DAECC500 A400003C
	ds_read_b64 a[166:167], v60 offset:50560                   // 00000000D59C: DAECC580 A600003C
	ds_read_b64 a[168:169], v60 offset:51456                   // 00000000D5A4: DAECC900 A800003C
	ds_read_b64 a[170:171], v60 offset:51584                   // 00000000D5AC: DAECC980 AA00003C
	ds_read_b64 a[172:173], v60 offset:52480                   // 00000000D5B4: DAECCD00 AC00003C
	ds_read_b64 a[174:175], v60 offset:52608                   // 00000000D5BC: DAECCD80 AE00003C
	ds_read_b64 a[176:177], v60 offset:53504                   // 00000000D5C4: DAECD100 B000003C
	ds_read_b64 a[178:179], v60 offset:53632                   // 00000000D5CC: DAECD180 B200003C
	ds_read_b64 a[180:181], v60 offset:54528                   // 00000000D5D4: DAECD500 B400003C
	ds_read_b64 a[182:183], v60 offset:54656                   // 00000000D5DC: DAECD580 B600003C
	ds_read_b64 a[184:185], v60 offset:55552                   // 00000000D5E4: DAECD900 B800003C
	ds_read_b64 a[186:187], v60 offset:55680                   // 00000000D5EC: DAECD980 BA00003C
	ds_read_b64 a[188:189], v60 offset:56576                   // 00000000D5F4: DAECDD00 BC00003C
	ds_read_b64 a[190:191], v60 offset:56704                   // 00000000D5FC: DAECDD80 BE00003C
	v_lshlrev_b32_e32 v60, 2, v0                               // 00000000D604: 24780082
	s_mul_i32 s56, s78, s67                                    // 00000000D608: 9238434E
	v_add_u32_e64 v96, v60, s56                                // 00000000D60C: D1340060 0000713C
	v_mov_b32_e32 v97, 0                                       // 00000000D614: 7EC20280
	s_mul_i32 s56, s79, s67                                    // 00000000D618: 9238434F
	v_add_u32_e64 v98, v60, s56                                // 00000000D61C: D1340062 0000713C
	v_mov_b32_e32 v99, 0                                       // 00000000D624: 7EC60280
	s_mul_i32 s56, s80, s67                                    // 00000000D628: 92384350
	v_add_u32_e64 v100, v60, s56                               // 00000000D62C: D1340064 0000713C
	v_mov_b32_e32 v101, 0                                      // 00000000D634: 7ECA0280
	s_mul_i32 s56, s81, s67                                    // 00000000D638: 92384351
	v_add_u32_e64 v102, v60, s56                               // 00000000D63C: D1340066 0000713C
	v_mov_b32_e32 v103, 0                                      // 00000000D644: 7ECE0280
	s_mul_i32 s56, s82, s67                                    // 00000000D648: 92384352
	v_add_u32_e64 v104, v60, s56                               // 00000000D64C: D1340068 0000713C
	v_mov_b32_e32 v105, 0                                      // 00000000D654: 7ED20280
	s_mul_i32 s56, s83, s67                                    // 00000000D658: 92384353
	v_add_u32_e64 v106, v60, s56                               // 00000000D65C: D134006A 0000713C
	v_mov_b32_e32 v107, 0                                      // 00000000D664: 7ED60280
	s_mul_i32 s56, s84, s67                                    // 00000000D668: 92384354
	v_add_u32_e64 v108, v60, s56                               // 00000000D66C: D134006C 0000713C
	v_mov_b32_e32 v109, 0                                      // 00000000D674: 7EDA0280
	s_mul_i32 s56, s85, s67                                    // 00000000D678: 92384355
	v_add_u32_e64 v110, v60, s56                               // 00000000D67C: D134006E 0000713C
	v_mov_b32_e32 v111, 0                                      // 00000000D684: 7EDE0280
	s_mul_i32 s56, s86, s67                                    // 00000000D688: 92384356
	v_add_u32_e64 v112, v60, s56                               // 00000000D68C: D1340070 0000713C
	v_mov_b32_e32 v113, 0                                      // 00000000D694: 7EE20280
	s_mul_i32 s56, s87, s67                                    // 00000000D698: 92384357
	v_add_u32_e64 v114, v60, s56                               // 00000000D69C: D1340072 0000713C
	v_mov_b32_e32 v115, 0                                      // 00000000D6A4: 7EE60280
	s_mul_i32 s56, s88, s67                                    // 00000000D6A8: 92384358
	v_add_u32_e64 v116, v60, s56                               // 00000000D6AC: D1340074 0000713C
	v_mov_b32_e32 v117, 0                                      // 00000000D6B4: 7EEA0280
	s_mul_i32 s56, s89, s67                                    // 00000000D6B8: 92384359
	v_add_u32_e64 v118, v60, s56                               // 00000000D6BC: D1340076 0000713C
	v_mov_b32_e32 v119, 0                                      // 00000000D6C4: 7EEE0280
	s_mul_i32 s56, s90, s67                                    // 00000000D6C8: 9238435A
	v_add_u32_e64 v120, v60, s56                               // 00000000D6CC: D1340078 0000713C
	v_mov_b32_e32 v121, 0                                      // 00000000D6D4: 7EF20280
	s_mul_i32 s56, s91, s67                                    // 00000000D6D8: 9238435B
	v_add_u32_e64 v122, v60, s56                               // 00000000D6DC: D134007A 0000713C
	v_mov_b32_e32 v123, 0                                      // 00000000D6E4: 7EF60280
	s_mul_i32 s56, s92, s67                                    // 00000000D6E8: 9238435C
	v_add_u32_e64 v124, v60, s56                               // 00000000D6EC: D134007C 0000713C
	v_mov_b32_e32 v125, 0                                      // 00000000D6F4: 7EFA0280
	s_mul_i32 s56, s93, s67                                    // 00000000D6F8: 9238435D
	v_add_u32_e64 v126, v60, s56                               // 00000000D6FC: D134007E 0000713C
	v_mov_b32_e32 v127, 0                                      // 00000000D704: 7EFE0280
	s_add_u32 s12, s52, s12                                    // 00000000D708: 800C0C34
	s_addc_u32 s13, 0, s13                                     // 00000000D70C: 820D0D80
	s_add_u32 s16, s75, s16                                    // 00000000D710: 8010104B
	s_addc_u32 s17, 0, s17                                     // 00000000D714: 82111180
	s_mov_b32 s76, 0                                           // 00000000D718: BECC0080
	s_waitcnt vmcnt(0) expcnt(0) lgkmcnt(0)                    // 00000000D71C: BF8C0000

000000000000d720 <label_2A48>:
	s_waitcnt vmcnt(12)                                        // 00000000D720: BF8C0F7C
	s_barrier                                                  // 00000000D724: BF8A0000
	v_mfma_f32_16x16x32_fp8_fp8 v[128:131], a[0:1], a[128:129], 0// 00000000D728: D3F30080 1A030100
	buffer_load_dwordx4 a[64:67], v51, s[12:15], 0 offen       // 00000000D730: E05C1000 80834033
	v_mfma_f32_16x16x32_fp8_fp8 v[128:131], a[2:3], a[130:131], v[128:131]// 00000000D738: D3F30080 1E030502
	v_mfma_f32_16x16x32_fp8_fp8 v[132:135], a[0:1], a[144:145], 0// 00000000D740: D3F30084 1A032100
	buffer_load_dword v38, v8, s[16:19], 0 offen               // 00000000D748: E0501000 80042608
	v_mfma_f32_16x16x32_fp8_fp8 v[132:135], a[2:3], a[146:147], v[132:135]// 00000000D750: D3F30084 1E132502
	v_mfma_f32_16x16x32_fp8_fp8 v[136:139], a[0:1], a[160:161], 0// 00000000D758: D3F30088 1A034100
	buffer_load_dwordx4 a[68:71], v52, s[12:15], 0 offen       // 00000000D760: E05C1000 80834434
	v_mfma_f32_16x16x32_fp8_fp8 v[136:139], a[2:3], a[162:163], v[136:139]// 00000000D768: D3F30088 1E234502
	v_mfma_f32_16x16x32_fp8_fp8 v[140:143], a[0:1], a[176:177], 0// 00000000D770: D3F3008C 1A036100
	v_mfma_f32_16x16x32_fp8_fp8 v[140:143], a[2:3], a[178:179], v[140:143]// 00000000D778: D3F3008C 1E336502
	v_mfma_f32_16x16x32_fp8_fp8 v[144:147], a[4:5], a[128:129], 0// 00000000D780: D3F30090 1A030104
	buffer_load_dwordx4 a[72:75], v53, s[12:15], 0 offen       // 00000000D788: E05C1000 80834835
	v_mfma_f32_16x16x32_fp8_fp8 v[144:147], a[6:7], a[130:131], v[144:147]// 00000000D790: D3F30090 1E430506
	v_mfma_f32_16x16x32_fp8_fp8 v[148:151], a[4:5], a[144:145], 0// 00000000D798: D3F30094 1A032104
	v_mfma_f32_16x16x32_fp8_fp8 v[148:151], a[6:7], a[146:147], v[148:151]// 00000000D7A0: D3F30094 1E532506
	v_mfma_f32_16x16x32_fp8_fp8 v[152:155], a[4:5], a[160:161], 0// 00000000D7A8: D3F30098 1A034104
	buffer_load_dwordx4 a[76:79], v54, s[12:15], 0 offen       // 00000000D7B0: E05C1000 80834C36
	s_add_u32 s12, s74, s12                                    // 00000000D7B8: 800C0C4A
	s_addc_u32 s13, 0, s13                                     // 00000000D7BC: 820D0D80
	v_mfma_f32_16x16x32_fp8_fp8 v[152:155], a[6:7], a[162:163], v[152:155]// 00000000D7C0: D3F30098 1E634506
	v_mfma_f32_16x16x32_fp8_fp8 v[156:159], a[4:5], a[176:177], 0// 00000000D7C8: D3F3009C 1A036104
	v_mfma_f32_16x16x32_fp8_fp8 v[156:159], a[6:7], a[178:179], v[156:159]// 00000000D7D0: D3F3009C 1E736506
	s_waitcnt vmcnt(13)                                        // 00000000D7D8: BF8C0F7D
	v_mfma_f32_16x16x32_fp8_fp8 v[160:163], a[8:9], a[128:129], 0// 00000000D7DC: D3F300A0 1A030108
	buffer_load_dwordx4 a[80:83], v51, s[12:15], 0 offen       // 00000000D7E4: E05C1000 80835033
	v_mfma_f32_16x16x32_fp8_fp8 v[160:163], a[10:11], a[130:131], v[160:163]// 00000000D7EC: D3F300A0 1E83050A
	v_mfma_f32_16x16x32_fp8_fp8 v[164:167], a[8:9], a[144:145], 0// 00000000D7F4: D3F300A4 1A032108
	v_mfma_f32_16x16x32_fp8_fp8 v[164:167], a[10:11], a[146:147], v[164:167]// 00000000D7FC: D3F300A4 1E93250A
	v_mfma_f32_16x16x32_fp8_fp8 v[168:171], a[8:9], a[160:161], 0// 00000000D804: D3F300A8 1A034108
	buffer_load_dwordx4 a[84:87], v52, s[12:15], 0 offen       // 00000000D80C: E05C1000 80835434
	v_mfma_f32_16x16x32_fp8_fp8 v[168:171], a[10:11], a[162:163], v[168:171]// 00000000D814: D3F300A8 1EA3450A
	v_mfma_f32_16x16x32_fp8_fp8 v[172:175], a[8:9], a[176:177], 0// 00000000D81C: D3F300AC 1A036108
	v_mfma_f32_16x16x32_fp8_fp8 v[172:175], a[10:11], a[178:179], v[172:175]// 00000000D824: D3F300AC 1EB3650A
	v_mfma_f32_16x16x32_fp8_fp8 v[176:179], a[12:13], a[128:129], 0// 00000000D82C: D3F300B0 1A03010C
	buffer_load_dwordx4 a[88:91], v53, s[12:15], 0 offen       // 00000000D834: E05C1000 80835835
	v_mfma_f32_16x16x32_fp8_fp8 v[176:179], a[14:15], a[130:131], v[176:179]// 00000000D83C: D3F300B0 1EC3050E
	v_mfma_f32_16x16x32_fp8_fp8 v[180:183], a[12:13], a[144:145], 0// 00000000D844: D3F300B4 1A03210C
	v_mfma_f32_16x16x32_fp8_fp8 v[180:183], a[14:15], a[146:147], v[180:183]// 00000000D84C: D3F300B4 1ED3250E
	v_mfma_f32_16x16x32_fp8_fp8 v[184:187], a[12:13], a[160:161], 0// 00000000D854: D3F300B8 1A03410C
	buffer_load_dwordx4 a[92:95], v54, s[12:15], 0 offen       // 00000000D85C: E05C1000 80835C36
	s_add_u32 s12, s74, s12                                    // 00000000D864: 800C0C4A
	s_addc_u32 s13, 0, s13                                     // 00000000D868: 820D0D80
	v_mfma_f32_16x16x32_fp8_fp8 v[184:187], a[14:15], a[162:163], v[184:187]// 00000000D86C: D3F300B8 1EE3450E
	v_mfma_f32_16x16x32_fp8_fp8 v[188:191], a[12:13], a[176:177], 0// 00000000D874: D3F300BC 1A03610C
	v_mfma_f32_16x16x32_fp8_fp8 v[188:191], a[14:15], a[178:179], v[188:191]// 00000000D87C: D3F300BC 1EF3650E
	s_waitcnt vmcnt(13)                                        // 00000000D884: BF8C0F7D
	v_mfma_f32_16x16x32_fp8_fp8 v[128:131], a[16:17], a[132:133], v[128:131]// 00000000D888: D3F30080 1E030910
	buffer_load_dwordx4 a[96:99], v51, s[12:15], 0 offen       // 00000000D890: E05C1000 80836033
	v_mfma_f32_16x16x32_fp8_fp8 v[128:131], a[18:19], a[134:135], v[128:131]// 00000000D898: D3F30080 1E030D12
	v_mfma_f32_16x16x32_fp8_fp8 v[132:135], a[16:17], a[148:149], v[132:135]// 00000000D8A0: D3F30084 1E132910
	v_mfma_f32_16x16x32_fp8_fp8 v[132:135], a[18:19], a[150:151], v[132:135]// 00000000D8A8: D3F30084 1E132D12
	v_mfma_f32_16x16x32_fp8_fp8 v[136:139], a[16:17], a[164:165], v[136:139]// 00000000D8B0: D3F30088 1E234910
	buffer_load_dwordx4 a[100:103], v52, s[12:15], 0 offen     // 00000000D8B8: E05C1000 80836434
	v_mfma_f32_16x16x32_fp8_fp8 v[136:139], a[18:19], a[166:167], v[136:139]// 00000000D8C0: D3F30088 1E234D12
	v_mfma_f32_16x16x32_fp8_fp8 v[140:143], a[16:17], a[180:181], v[140:143]// 00000000D8C8: D3F3008C 1E336910
	v_mfma_f32_16x16x32_fp8_fp8 v[140:143], a[18:19], a[182:183], v[140:143]// 00000000D8D0: D3F3008C 1E336D12
	v_mfma_f32_16x16x32_fp8_fp8 v[144:147], a[20:21], a[132:133], v[144:147]// 00000000D8D8: D3F30090 1E430914
	buffer_load_dwordx4 a[104:107], v53, s[12:15], 0 offen     // 00000000D8E0: E05C1000 80836835
	v_mfma_f32_16x16x32_fp8_fp8 v[144:147], a[22:23], a[134:135], v[144:147]// 00000000D8E8: D3F30090 1E430D16
	v_mfma_f32_16x16x32_fp8_fp8 v[148:151], a[20:21], a[148:149], v[148:151]// 00000000D8F0: D3F30094 1E532914
	v_mfma_f32_16x16x32_fp8_fp8 v[148:151], a[22:23], a[150:151], v[148:151]// 00000000D8F8: D3F30094 1E532D16
	v_mfma_f32_16x16x32_fp8_fp8 v[152:155], a[20:21], a[164:165], v[152:155]// 00000000D900: D3F30098 1E634914
	buffer_load_dwordx4 a[108:111], v54, s[12:15], 0 offen     // 00000000D908: E05C1000 80836C36
	s_add_u32 s12, s74, s12                                    // 00000000D910: 800C0C4A
	s_addc_u32 s13, 0, s13                                     // 00000000D914: 820D0D80
	v_mfma_f32_16x16x32_fp8_fp8 v[152:155], a[22:23], a[166:167], v[152:155]// 00000000D918: D3F30098 1E634D16
	v_mfma_f32_16x16x32_fp8_fp8 v[156:159], a[20:21], a[180:181], v[156:159]// 00000000D920: D3F3009C 1E736914
	v_mfma_f32_16x16x32_fp8_fp8 v[156:159], a[22:23], a[182:183], v[156:159]// 00000000D928: D3F3009C 1E736D16
	s_waitcnt vmcnt(13)                                        // 00000000D930: BF8C0F7D
	v_mfma_f32_16x16x32_fp8_fp8 v[160:163], a[24:25], a[132:133], v[160:163]// 00000000D934: D3F300A0 1E830918
	buffer_load_dwordx4 a[112:115], v51, s[12:15], 0 offen     // 00000000D93C: E05C1000 80837033
	v_mfma_f32_16x16x32_fp8_fp8 v[160:163], a[26:27], a[134:135], v[160:163]// 00000000D944: D3F300A0 1E830D1A
	v_mfma_f32_16x16x32_fp8_fp8 v[164:167], a[24:25], a[148:149], v[164:167]// 00000000D94C: D3F300A4 1E932918
	v_mfma_f32_16x16x32_fp8_fp8 v[164:167], a[26:27], a[150:151], v[164:167]// 00000000D954: D3F300A4 1E932D1A
	v_mfma_f32_16x16x32_fp8_fp8 v[168:171], a[24:25], a[164:165], v[168:171]// 00000000D95C: D3F300A8 1EA34918
	buffer_load_dwordx4 a[116:119], v52, s[12:15], 0 offen     // 00000000D964: E05C1000 80837434
	v_mfma_f32_16x16x32_fp8_fp8 v[168:171], a[26:27], a[166:167], v[168:171]// 00000000D96C: D3F300A8 1EA34D1A
	v_mfma_f32_16x16x32_fp8_fp8 v[172:175], a[24:25], a[180:181], v[172:175]// 00000000D974: D3F300AC 1EB36918
	v_mfma_f32_16x16x32_fp8_fp8 v[172:175], a[26:27], a[182:183], v[172:175]// 00000000D97C: D3F300AC 1EB36D1A
	v_mfma_f32_16x16x32_fp8_fp8 v[176:179], a[28:29], a[132:133], v[176:179]// 00000000D984: D3F300B0 1EC3091C
	buffer_load_dwordx4 a[120:123], v53, s[12:15], 0 offen     // 00000000D98C: E05C1000 80837835
	v_mfma_f32_16x16x32_fp8_fp8 v[176:179], a[30:31], a[134:135], v[176:179]// 00000000D994: D3F300B0 1EC30D1E
	v_mfma_f32_16x16x32_fp8_fp8 v[180:183], a[28:29], a[148:149], v[180:183]// 00000000D99C: D3F300B4 1ED3291C
	v_mfma_f32_16x16x32_fp8_fp8 v[180:183], a[30:31], a[150:151], v[180:183]// 00000000D9A4: D3F300B4 1ED32D1E
	v_mfma_f32_16x16x32_fp8_fp8 v[184:187], a[28:29], a[164:165], v[184:187]// 00000000D9AC: D3F300B8 1EE3491C
	buffer_load_dwordx4 a[124:127], v54, s[12:15], 0 offen     // 00000000D9B4: E05C1000 80837C36
	v_mfma_f32_16x16x32_fp8_fp8 v[184:187], a[30:31], a[166:167], v[184:187]// 00000000D9BC: D3F300B8 1EE34D1E
	v_mfma_f32_16x16x32_fp8_fp8 v[188:191], a[28:29], a[180:181], v[188:191]// 00000000D9C4: D3F300BC 1EF3691C
	v_mfma_f32_16x16x32_fp8_fp8 v[188:191], a[30:31], a[182:183], v[188:191]// 00000000D9CC: D3F300BC 1EF36D1E
	v_mul_f32_dpp v60, v37, v21 row_newbcast:0 row_mask:0xf bank_mask:0xf// 00000000D9D4: 0A782AFA FF015025
	v_mov_b32_e32 v61, v60                                     // 00000000D9DC: 7E7A033C
	v_pk_mul_f32 v[128:129], v[60:61], v[128:129]              // 00000000D9E0: D3B14080 1803013C
	v_pk_mul_f32 v[130:131], v[60:61], v[130:131]              // 00000000D9E8: D3B14082 1803053C
	v_pk_mul_f32 v[144:145], v[60:61], v[144:145]              // 00000000D9F0: D3B14090 1803213C
	v_pk_mul_f32 v[146:147], v[60:61], v[146:147]              // 00000000D9F8: D3B14092 1803253C
	v_mul_f32_dpp v60, v37, v21 row_newbcast:1 row_mask:0xf bank_mask:0xf// 00000000DA00: 0A782AFA FF015125
	v_mov_b32_e32 v61, v60                                     // 00000000DA08: 7E7A033C
	v_pk_mul_f32 v[160:161], v[60:61], v[160:161]              // 00000000DA0C: D3B140A0 1803413C
	v_pk_mul_f32 v[162:163], v[60:61], v[162:163]              // 00000000DA14: D3B140A2 1803453C
	v_pk_mul_f32 v[176:177], v[60:61], v[176:177]              // 00000000DA1C: D3B140B0 1803613C
	v_pk_mul_f32 v[178:179], v[60:61], v[178:179]              // 00000000DA24: D3B140B2 1803653C
	v_mul_f32_dpp v60, v37, v22 row_newbcast:0 row_mask:0xf bank_mask:0xf// 00000000DA2C: 0A782CFA FF015025
	v_mov_b32_e32 v61, v60                                     // 00000000DA34: 7E7A033C
	v_pk_mul_f32 v[132:133], v[60:61], v[132:133]              // 00000000DA38: D3B14084 1803093C
	v_pk_mul_f32 v[134:135], v[60:61], v[134:135]              // 00000000DA40: D3B14086 18030D3C
	v_pk_mul_f32 v[148:149], v[60:61], v[148:149]              // 00000000DA48: D3B14094 1803293C
	v_pk_mul_f32 v[150:151], v[60:61], v[150:151]              // 00000000DA50: D3B14096 18032D3C
	v_mul_f32_dpp v60, v37, v22 row_newbcast:1 row_mask:0xf bank_mask:0xf// 00000000DA58: 0A782CFA FF015125
	v_mov_b32_e32 v61, v60                                     // 00000000DA60: 7E7A033C
	v_pk_mul_f32 v[164:165], v[60:61], v[164:165]              // 00000000DA64: D3B140A4 1803493C
	v_pk_mul_f32 v[166:167], v[60:61], v[166:167]              // 00000000DA6C: D3B140A6 18034D3C
	v_pk_mul_f32 v[180:181], v[60:61], v[180:181]              // 00000000DA74: D3B140B4 1803693C
	v_pk_mul_f32 v[182:183], v[60:61], v[182:183]              // 00000000DA7C: D3B140B6 18036D3C
	v_mul_f32_dpp v60, v37, v23 row_newbcast:0 row_mask:0xf bank_mask:0xf// 00000000DA84: 0A782EFA FF015025
	v_mov_b32_e32 v61, v60                                     // 00000000DA8C: 7E7A033C
	v_pk_mul_f32 v[136:137], v[60:61], v[136:137]              // 00000000DA90: D3B14088 1803113C
	v_pk_mul_f32 v[138:139], v[60:61], v[138:139]              // 00000000DA98: D3B1408A 1803153C
	v_pk_mul_f32 v[152:153], v[60:61], v[152:153]              // 00000000DAA0: D3B14098 1803313C
	v_pk_mul_f32 v[154:155], v[60:61], v[154:155]              // 00000000DAA8: D3B1409A 1803353C
	v_mul_f32_dpp v60, v37, v23 row_newbcast:1 row_mask:0xf bank_mask:0xf// 00000000DAB0: 0A782EFA FF015125
	v_mov_b32_e32 v61, v60                                     // 00000000DAB8: 7E7A033C
	v_pk_mul_f32 v[168:169], v[60:61], v[168:169]              // 00000000DABC: D3B140A8 1803513C
	v_pk_mul_f32 v[170:171], v[60:61], v[170:171]              // 00000000DAC4: D3B140AA 1803553C
	v_pk_mul_f32 v[184:185], v[60:61], v[184:185]              // 00000000DACC: D3B140B8 1803713C
	v_pk_mul_f32 v[186:187], v[60:61], v[186:187]              // 00000000DAD4: D3B140BA 1803753C
	v_mul_f32_dpp v60, v37, v24 row_newbcast:0 row_mask:0xf bank_mask:0xf// 00000000DADC: 0A7830FA FF015025
	v_mov_b32_e32 v61, v60                                     // 00000000DAE4: 7E7A033C
	v_pk_mul_f32 v[140:141], v[60:61], v[140:141]              // 00000000DAE8: D3B1408C 1803193C
	v_pk_mul_f32 v[142:143], v[60:61], v[142:143]              // 00000000DAF0: D3B1408E 18031D3C
	v_pk_mul_f32 v[156:157], v[60:61], v[156:157]              // 00000000DAF8: D3B1409C 1803393C
	v_pk_mul_f32 v[158:159], v[60:61], v[158:159]              // 00000000DB00: D3B1409E 18033D3C
	v_mul_f32_dpp v60, v37, v24 row_newbcast:1 row_mask:0xf bank_mask:0xf// 00000000DB08: 0A7830FA FF015125
	v_mov_b32_e32 v61, v60                                     // 00000000DB10: 7E7A033C
	v_pk_mul_f32 v[172:173], v[60:61], v[172:173]              // 00000000DB14: D3B140AC 1803593C
	v_pk_mul_f32 v[174:175], v[60:61], v[174:175]              // 00000000DB1C: D3B140AE 18035D3C
	v_pk_mul_f32 v[188:189], v[60:61], v[188:189]              // 00000000DB24: D3B140BC 1803793C
	v_pk_mul_f32 v[190:191], v[60:61], v[190:191]              // 00000000DB2C: D3B140BE 18037D3C
	s_waitcnt vmcnt(13)                                        // 00000000DB34: BF8C0F7D
	v_mfma_f32_16x16x32_fp8_fp8 v[192:195], a[32:33], a[136:137], 0// 00000000DB38: D3F300C0 1A031120
	v_mfma_f32_16x16x32_fp8_fp8 v[192:195], a[34:35], a[138:139], v[192:195]// 00000000DB40: D3F300C0 1F031522
	v_mfma_f32_16x16x32_fp8_fp8 v[196:199], a[32:33], a[152:153], 0// 00000000DB48: D3F300C4 1A033120
	v_mfma_f32_16x16x32_fp8_fp8 v[196:199], a[34:35], a[154:155], v[196:199]// 00000000DB50: D3F300C4 1F133522
	v_mfma_f32_16x16x32_fp8_fp8 v[200:203], a[32:33], a[168:169], 0// 00000000DB58: D3F300C8 1A035120
	v_mfma_f32_16x16x32_fp8_fp8 v[200:203], a[34:35], a[170:171], v[200:203]// 00000000DB60: D3F300C8 1F235522
	v_mfma_f32_16x16x32_fp8_fp8 v[204:207], a[32:33], a[184:185], 0// 00000000DB68: D3F300CC 1A037120
	v_mfma_f32_16x16x32_fp8_fp8 v[204:207], a[34:35], a[186:187], v[204:207]// 00000000DB70: D3F300CC 1F337522
	v_mfma_f32_16x16x32_fp8_fp8 v[208:211], a[36:37], a[136:137], 0// 00000000DB78: D3F300D0 1A031124
	v_mfma_f32_16x16x32_fp8_fp8 v[208:211], a[38:39], a[138:139], v[208:211]// 00000000DB80: D3F300D0 1F431526
	v_mfma_f32_16x16x32_fp8_fp8 v[212:215], a[36:37], a[152:153], 0// 00000000DB88: D3F300D4 1A033124
	v_mfma_f32_16x16x32_fp8_fp8 v[212:215], a[38:39], a[154:155], v[212:215]// 00000000DB90: D3F300D4 1F533526
	v_mfma_f32_16x16x32_fp8_fp8 v[216:219], a[36:37], a[168:169], 0// 00000000DB98: D3F300D8 1A035124
	v_mfma_f32_16x16x32_fp8_fp8 v[216:219], a[38:39], a[170:171], v[216:219]// 00000000DBA0: D3F300D8 1F635526
	v_mfma_f32_16x16x32_fp8_fp8 v[220:223], a[36:37], a[184:185], 0// 00000000DBA8: D3F300DC 1A037124
	v_mfma_f32_16x16x32_fp8_fp8 v[220:223], a[38:39], a[186:187], v[220:223]// 00000000DBB0: D3F300DC 1F737526
	s_waitcnt vmcnt(13)                                        // 00000000DBB8: BF8C0F7D
	v_mfma_f32_16x16x32_fp8_fp8 v[224:227], a[40:41], a[136:137], 0// 00000000DBBC: D3F300E0 1A031128
	v_mfma_f32_16x16x32_fp8_fp8 v[224:227], a[42:43], a[138:139], v[224:227]// 00000000DBC4: D3F300E0 1F83152A
	v_mfma_f32_16x16x32_fp8_fp8 v[228:231], a[40:41], a[152:153], 0// 00000000DBCC: D3F300E4 1A033128
	v_mfma_f32_16x16x32_fp8_fp8 v[228:231], a[42:43], a[154:155], v[228:231]// 00000000DBD4: D3F300E4 1F93352A
	v_mfma_f32_16x16x32_fp8_fp8 v[232:235], a[40:41], a[168:169], 0// 00000000DBDC: D3F300E8 1A035128
	v_mfma_f32_16x16x32_fp8_fp8 v[232:235], a[42:43], a[170:171], v[232:235]// 00000000DBE4: D3F300E8 1FA3552A
	v_mfma_f32_16x16x32_fp8_fp8 v[236:239], a[40:41], a[184:185], 0// 00000000DBEC: D3F300EC 1A037128
	v_mfma_f32_16x16x32_fp8_fp8 v[236:239], a[42:43], a[186:187], v[236:239]// 00000000DBF4: D3F300EC 1FB3752A
	v_mfma_f32_16x16x32_fp8_fp8 v[240:243], a[44:45], a[136:137], 0// 00000000DBFC: D3F300F0 1A03112C
	v_mfma_f32_16x16x32_fp8_fp8 v[240:243], a[46:47], a[138:139], v[240:243]// 00000000DC04: D3F300F0 1FC3152E
	v_mfma_f32_16x16x32_fp8_fp8 v[244:247], a[44:45], a[152:153], 0// 00000000DC0C: D3F300F4 1A03312C
	v_mfma_f32_16x16x32_fp8_fp8 v[244:247], a[46:47], a[154:155], v[244:247]// 00000000DC14: D3F300F4 1FD3352E
	v_mfma_f32_16x16x32_fp8_fp8 v[248:251], a[44:45], a[168:169], 0// 00000000DC1C: D3F300F8 1A03512C
	v_mfma_f32_16x16x32_fp8_fp8 v[248:251], a[46:47], a[170:171], v[248:251]// 00000000DC24: D3F300F8 1FE3552E
	v_mfma_f32_16x16x32_fp8_fp8 v[252:255], a[44:45], a[184:185], 0// 00000000DC2C: D3F300FC 1A03712C
	v_mfma_f32_16x16x32_fp8_fp8 v[252:255], a[46:47], a[186:187], v[252:255]// 00000000DC34: D3F300FC 1FF3752E
	s_waitcnt vmcnt(13)                                        // 00000000DC3C: BF8C0F7D
	v_mfma_f32_16x16x32_fp8_fp8 v[192:195], a[48:49], a[140:141], v[192:195]// 00000000DC40: D3F300C0 1F031930
	v_mfma_f32_16x16x32_fp8_fp8 v[192:195], a[50:51], a[142:143], v[192:195]// 00000000DC48: D3F300C0 1F031D32
	v_mfma_f32_16x16x32_fp8_fp8 v[196:199], a[48:49], a[156:157], v[196:199]// 00000000DC50: D3F300C4 1F133930
	v_mfma_f32_16x16x32_fp8_fp8 v[196:199], a[50:51], a[158:159], v[196:199]// 00000000DC58: D3F300C4 1F133D32
	v_mfma_f32_16x16x32_fp8_fp8 v[200:203], a[48:49], a[172:173], v[200:203]// 00000000DC60: D3F300C8 1F235930
	v_mfma_f32_16x16x32_fp8_fp8 v[200:203], a[50:51], a[174:175], v[200:203]// 00000000DC68: D3F300C8 1F235D32
	v_mfma_f32_16x16x32_fp8_fp8 v[204:207], a[48:49], a[188:189], v[204:207]// 00000000DC70: D3F300CC 1F337930
	v_mfma_f32_16x16x32_fp8_fp8 v[204:207], a[50:51], a[190:191], v[204:207]// 00000000DC78: D3F300CC 1F337D32
	v_mfma_f32_16x16x32_fp8_fp8 v[208:211], a[52:53], a[140:141], v[208:211]// 00000000DC80: D3F300D0 1F431934
	v_mfma_f32_16x16x32_fp8_fp8 v[208:211], a[54:55], a[142:143], v[208:211]// 00000000DC88: D3F300D0 1F431D36
	v_mfma_f32_16x16x32_fp8_fp8 v[212:215], a[52:53], a[156:157], v[212:215]// 00000000DC90: D3F300D4 1F533934
	v_mfma_f32_16x16x32_fp8_fp8 v[212:215], a[54:55], a[158:159], v[212:215]// 00000000DC98: D3F300D4 1F533D36
	v_mfma_f32_16x16x32_fp8_fp8 v[216:219], a[52:53], a[172:173], v[216:219]// 00000000DCA0: D3F300D8 1F635934
	v_mfma_f32_16x16x32_fp8_fp8 v[216:219], a[54:55], a[174:175], v[216:219]// 00000000DCA8: D3F300D8 1F635D36
	v_mfma_f32_16x16x32_fp8_fp8 v[220:223], a[52:53], a[188:189], v[220:223]// 00000000DCB0: D3F300DC 1F737934
	v_mfma_f32_16x16x32_fp8_fp8 v[220:223], a[54:55], a[190:191], v[220:223]// 00000000DCB8: D3F300DC 1F737D36
	s_waitcnt vmcnt(13)                                        // 00000000DCC0: BF8C0F7D
	v_mfma_f32_16x16x32_fp8_fp8 v[224:227], a[56:57], a[140:141], v[224:227]// 00000000DCC4: D3F300E0 1F831938
	v_mfma_f32_16x16x32_fp8_fp8 v[224:227], a[58:59], a[142:143], v[224:227]// 00000000DCCC: D3F300E0 1F831D3A
	v_mfma_f32_16x16x32_fp8_fp8 v[228:231], a[56:57], a[156:157], v[228:231]// 00000000DCD4: D3F300E4 1F933938
	v_mfma_f32_16x16x32_fp8_fp8 v[228:231], a[58:59], a[158:159], v[228:231]// 00000000DCDC: D3F300E4 1F933D3A
	v_mfma_f32_16x16x32_fp8_fp8 v[232:235], a[56:57], a[172:173], v[232:235]// 00000000DCE4: D3F300E8 1FA35938
	v_mfma_f32_16x16x32_fp8_fp8 v[232:235], a[58:59], a[174:175], v[232:235]// 00000000DCEC: D3F300E8 1FA35D3A
	v_mfma_f32_16x16x32_fp8_fp8 v[236:239], a[56:57], a[188:189], v[236:239]// 00000000DCF4: D3F300EC 1FB37938
	v_mfma_f32_16x16x32_fp8_fp8 v[236:239], a[58:59], a[190:191], v[236:239]// 00000000DCFC: D3F300EC 1FB37D3A
	v_mfma_f32_16x16x32_fp8_fp8 v[240:243], a[60:61], a[140:141], v[240:243]// 00000000DD04: D3F300F0 1FC3193C
	v_mfma_f32_16x16x32_fp8_fp8 v[240:243], a[62:63], a[142:143], v[240:243]// 00000000DD0C: D3F300F0 1FC31D3E
	v_mfma_f32_16x16x32_fp8_fp8 v[244:247], a[60:61], a[156:157], v[244:247]// 00000000DD14: D3F300F4 1FD3393C
	v_mfma_f32_16x16x32_fp8_fp8 v[244:247], a[62:63], a[158:159], v[244:247]// 00000000DD1C: D3F300F4 1FD33D3E
	v_mfma_f32_16x16x32_fp8_fp8 v[248:251], a[60:61], a[172:173], v[248:251]// 00000000DD24: D3F300F8 1FE3593C
	v_mfma_f32_16x16x32_fp8_fp8 v[248:251], a[62:63], a[174:175], v[248:251]// 00000000DD2C: D3F300F8 1FE35D3E
	v_mfma_f32_16x16x32_fp8_fp8 v[252:255], a[60:61], a[188:189], v[252:255]// 00000000DD34: D3F300FC 1FF3793C
	v_mfma_f32_16x16x32_fp8_fp8 v[252:255], a[62:63], a[190:191], v[252:255]// 00000000DD3C: D3F300FC 1FF37D3E
	v_mul_f32_dpp v60, v37, v25 row_newbcast:2 row_mask:0xf bank_mask:0xf// 00000000DD44: 0A7832FA FF015225
	v_mov_b32_e32 v61, v60                                     // 00000000DD4C: 7E7A033C
	v_pk_fma_f32 v[128:129], v[192:193], v[60:61], v[128:129]  // 00000000DD50: D3B04080 1E0279C0
	v_pk_fma_f32 v[130:131], v[194:195], v[60:61], v[130:131]  // 00000000DD58: D3B04082 1E0A79C2
	v_pk_fma_f32 v[144:145], v[208:209], v[60:61], v[144:145]  // 00000000DD60: D3B04090 1E4279D0
	v_pk_fma_f32 v[146:147], v[210:211], v[60:61], v[146:147]  // 00000000DD68: D3B04092 1E4A79D2
	v_mul_f32_dpp v60, v37, v25 row_newbcast:3 row_mask:0xf bank_mask:0xf// 00000000DD70: 0A7832FA FF015325
	v_mov_b32_e32 v61, v60                                     // 00000000DD78: 7E7A033C
	v_pk_fma_f32 v[160:161], v[224:225], v[60:61], v[160:161]  // 00000000DD7C: D3B040A0 1E8279E0
	v_pk_fma_f32 v[162:163], v[226:227], v[60:61], v[162:163]  // 00000000DD84: D3B040A2 1E8A79E2
	v_pk_fma_f32 v[176:177], v[240:241], v[60:61], v[176:177]  // 00000000DD8C: D3B040B0 1EC279F0
	v_pk_fma_f32 v[178:179], v[242:243], v[60:61], v[178:179]  // 00000000DD94: D3B040B2 1ECA79F2
	v_mul_f32_dpp v60, v37, v26 row_newbcast:2 row_mask:0xf bank_mask:0xf// 00000000DD9C: 0A7834FA FF015225
	v_mov_b32_e32 v61, v60                                     // 00000000DDA4: 7E7A033C
	v_pk_fma_f32 v[132:133], v[196:197], v[60:61], v[132:133]  // 00000000DDA8: D3B04084 1E1279C4
	v_pk_fma_f32 v[134:135], v[198:199], v[60:61], v[134:135]  // 00000000DDB0: D3B04086 1E1A79C6
	v_pk_fma_f32 v[148:149], v[212:213], v[60:61], v[148:149]  // 00000000DDB8: D3B04094 1E5279D4
	v_pk_fma_f32 v[150:151], v[214:215], v[60:61], v[150:151]  // 00000000DDC0: D3B04096 1E5A79D6
	v_mul_f32_dpp v60, v37, v26 row_newbcast:3 row_mask:0xf bank_mask:0xf// 00000000DDC8: 0A7834FA FF015325
	v_mov_b32_e32 v61, v60                                     // 00000000DDD0: 7E7A033C
	v_pk_fma_f32 v[164:165], v[228:229], v[60:61], v[164:165]  // 00000000DDD4: D3B040A4 1E9279E4
	v_pk_fma_f32 v[166:167], v[230:231], v[60:61], v[166:167]  // 00000000DDDC: D3B040A6 1E9A79E6
	v_pk_fma_f32 v[180:181], v[244:245], v[60:61], v[180:181]  // 00000000DDE4: D3B040B4 1ED279F4
	v_pk_fma_f32 v[182:183], v[246:247], v[60:61], v[182:183]  // 00000000DDEC: D3B040B6 1EDA79F6
	v_mul_f32_dpp v60, v37, v27 row_newbcast:2 row_mask:0xf bank_mask:0xf// 00000000DDF4: 0A7836FA FF015225
	v_mov_b32_e32 v61, v60                                     // 00000000DDFC: 7E7A033C
	v_pk_fma_f32 v[136:137], v[200:201], v[60:61], v[136:137]  // 00000000DE00: D3B04088 1E2279C8
	v_pk_fma_f32 v[138:139], v[202:203], v[60:61], v[138:139]  // 00000000DE08: D3B0408A 1E2A79CA
	v_pk_fma_f32 v[152:153], v[216:217], v[60:61], v[152:153]  // 00000000DE10: D3B04098 1E6279D8
	v_pk_fma_f32 v[154:155], v[218:219], v[60:61], v[154:155]  // 00000000DE18: D3B0409A 1E6A79DA
	v_mul_f32_dpp v60, v37, v27 row_newbcast:3 row_mask:0xf bank_mask:0xf// 00000000DE20: 0A7836FA FF015325
	v_mov_b32_e32 v61, v60                                     // 00000000DE28: 7E7A033C
	v_pk_fma_f32 v[168:169], v[232:233], v[60:61], v[168:169]  // 00000000DE2C: D3B040A8 1EA279E8
	v_pk_fma_f32 v[170:171], v[234:235], v[60:61], v[170:171]  // 00000000DE34: D3B040AA 1EAA79EA
	v_pk_fma_f32 v[184:185], v[248:249], v[60:61], v[184:185]  // 00000000DE3C: D3B040B8 1EE279F8
	v_pk_fma_f32 v[186:187], v[250:251], v[60:61], v[186:187]  // 00000000DE44: D3B040BA 1EEA79FA
	v_mul_f32_dpp v60, v37, v28 row_newbcast:2 row_mask:0xf bank_mask:0xf// 00000000DE4C: 0A7838FA FF015225
	v_mov_b32_e32 v61, v60                                     // 00000000DE54: 7E7A033C
	v_pk_fma_f32 v[140:141], v[204:205], v[60:61], v[140:141]  // 00000000DE58: D3B0408C 1E3279CC
	v_pk_fma_f32 v[142:143], v[206:207], v[60:61], v[142:143]  // 00000000DE60: D3B0408E 1E3A79CE
	v_pk_fma_f32 v[156:157], v[220:221], v[60:61], v[156:157]  // 00000000DE68: D3B0409C 1E7279DC
	v_pk_fma_f32 v[158:159], v[222:223], v[60:61], v[158:159]  // 00000000DE70: D3B0409E 1E7A79DE
	v_mul_f32_dpp v60, v37, v28 row_newbcast:3 row_mask:0xf bank_mask:0xf// 00000000DE78: 0A7838FA FF015325
	v_mov_b32_e32 v61, v60                                     // 00000000DE80: 7E7A033C
	v_pk_fma_f32 v[172:173], v[236:237], v[60:61], v[172:173]  // 00000000DE84: D3B040AC 1EB279EC
	v_pk_fma_f32 v[174:175], v[238:239], v[60:61], v[174:175]  // 00000000DE8C: D3B040AE 1EBA79EE
	v_pk_fma_f32 v[188:189], v[252:253], v[60:61], v[188:189]  // 00000000DE94: D3B040BC 1EF279FC
	v_pk_fma_f32 v[190:191], v[254:255], v[60:61], v[190:191]  // 00000000DE9C: D3B040BE 1EFA79FE
	s_add_u32 s56, 0x200, s76                                  // 00000000DEA4: 80384CFF 00000200
	s_cmp_lt_u32 s56, s77                                      // 00000000DEAC: BF0A4D38
	s_cselect_b32 s52, s52, 0                                  // 00000000DEB0: 85348034
	s_cselect_b32 s74, s74, 0                                  // 00000000DEB4: 854A804A
	s_cselect_b32 s75, s75, 0                                  // 00000000DEB8: 854B804B
	s_add_u32 s12, s52, s12                                    // 00000000DEBC: 800C0C34
	s_addc_u32 s13, 0, s13                                     // 00000000DEC0: 820D0D80
	s_add_u32 s16, s75, s16                                    // 00000000DEC4: 8010104B
	s_addc_u32 s17, 0, s17                                     // 00000000DEC8: 82111180
	v_mov_b32_e32 v60, v39                                     // 00000000DECC: 7E780327
	v_mov_b32_e32 v61, v39                                     // 00000000DED0: 7E7A0327
	v_pk_mul_f32 v[128:129], v[60:61], v[128:129]              // 00000000DED4: D3B14080 1803013C
	v_pk_mul_f32 v[130:131], v[60:61], v[130:131]              // 00000000DEDC: D3B14082 1803053C
	v_pk_mul_f32 v[144:145], v[60:61], v[144:145]              // 00000000DEE4: D3B14090 1803213C
	v_pk_mul_f32 v[146:147], v[60:61], v[146:147]              // 00000000DEEC: D3B14092 1803253C
	v_pk_mul_f32 v[160:161], v[60:61], v[160:161]              // 00000000DEF4: D3B140A0 1803413C
	v_pk_mul_f32 v[162:163], v[60:61], v[162:163]              // 00000000DEFC: D3B140A2 1803453C
	v_pk_mul_f32 v[176:177], v[60:61], v[176:177]              // 00000000DF04: D3B140B0 1803613C
	v_pk_mul_f32 v[178:179], v[60:61], v[178:179]              // 00000000DF0C: D3B140B2 1803653C
	v_mov_b32_e32 v60, v40                                     // 00000000DF14: 7E780328
	v_mov_b32_e32 v61, v40                                     // 00000000DF18: 7E7A0328
	v_pk_mul_f32 v[132:133], v[60:61], v[132:133]              // 00000000DF1C: D3B14084 1803093C
	v_pk_mul_f32 v[134:135], v[60:61], v[134:135]              // 00000000DF24: D3B14086 18030D3C
	v_pk_mul_f32 v[148:149], v[60:61], v[148:149]              // 00000000DF2C: D3B14094 1803293C
	v_pk_mul_f32 v[150:151], v[60:61], v[150:151]              // 00000000DF34: D3B14096 18032D3C
	v_pk_mul_f32 v[164:165], v[60:61], v[164:165]              // 00000000DF3C: D3B140A4 1803493C
	v_pk_mul_f32 v[166:167], v[60:61], v[166:167]              // 00000000DF44: D3B140A6 18034D3C
	v_pk_mul_f32 v[180:181], v[60:61], v[180:181]              // 00000000DF4C: D3B140B4 1803693C
	v_pk_mul_f32 v[182:183], v[60:61], v[182:183]              // 00000000DF54: D3B140B6 18036D3C
	v_mov_b32_e32 v60, v41                                     // 00000000DF5C: 7E780329
	v_mov_b32_e32 v61, v41                                     // 00000000DF60: 7E7A0329
	v_pk_mul_f32 v[136:137], v[60:61], v[136:137]              // 00000000DF64: D3B14088 1803113C
	v_pk_mul_f32 v[138:139], v[60:61], v[138:139]              // 00000000DF6C: D3B1408A 1803153C
	v_pk_mul_f32 v[152:153], v[60:61], v[152:153]              // 00000000DF74: D3B14098 1803313C
	v_pk_mul_f32 v[154:155], v[60:61], v[154:155]              // 00000000DF7C: D3B1409A 1803353C
	v_pk_mul_f32 v[168:169], v[60:61], v[168:169]              // 00000000DF84: D3B140A8 1803513C
	v_pk_mul_f32 v[170:171], v[60:61], v[170:171]              // 00000000DF8C: D3B140AA 1803553C
	v_pk_mul_f32 v[184:185], v[60:61], v[184:185]              // 00000000DF94: D3B140B8 1803713C
	v_pk_mul_f32 v[186:187], v[60:61], v[186:187]              // 00000000DF9C: D3B140BA 1803753C
	v_mov_b32_e32 v60, v42                                     // 00000000DFA4: 7E78032A
	v_mov_b32_e32 v61, v42                                     // 00000000DFA8: 7E7A032A
	v_pk_mul_f32 v[140:141], v[60:61], v[140:141]              // 00000000DFAC: D3B1408C 1803193C
	v_pk_mul_f32 v[142:143], v[60:61], v[142:143]              // 00000000DFB4: D3B1408E 18031D3C
	v_pk_mul_f32 v[156:157], v[60:61], v[156:157]              // 00000000DFBC: D3B1409C 1803393C
	v_pk_mul_f32 v[158:159], v[60:61], v[158:159]              // 00000000DFC4: D3B1409E 18033D3C
	v_pk_mul_f32 v[172:173], v[60:61], v[172:173]              // 00000000DFCC: D3B140AC 1803593C
	v_pk_mul_f32 v[174:175], v[60:61], v[174:175]              // 00000000DFD4: D3B140AE 18035D3C
	v_pk_mul_f32 v[188:189], v[60:61], v[188:189]              // 00000000DFDC: D3B140BC 1803793C
	v_pk_mul_f32 v[190:191], v[60:61], v[190:191]              // 00000000DFE4: D3B140BE 18037D3C
	s_mov_b32 s56, 0x7060302                                   // 00000000DFEC: BEB800FF 07060302
	v_cmp_u_f32_e64 s[48:49], v128, v128                       // 00000000DFF4: D0480030 00030180
	v_add3_u32 v55, v128, v58, 1                               // 00000000DFFC: D1FF0037 02067580
	v_cndmask_b32_e64 v60, v55, v57, s[48:49]                  // 00000000E004: D100003C 00C27337
	v_cmp_u_f32_e64 s[48:49], v129, v129                       // 00000000E00C: D0480030 00030381
	v_add3_u32 v55, v129, v58, 1                               // 00000000E014: D1FF0037 02067581
	v_cndmask_b32_e64 v61, v55, v57, s[48:49]                  // 00000000E01C: D100003D 00C27337
	v_perm_b32 v128, v61, v60, s56                             // 00000000E024: D1ED0080 00E2793D
	s_mov_b32 s56, 0x7060302                                   // 00000000E02C: BEB800FF 07060302
	v_cmp_u_f32_e64 s[48:49], v130, v130                       // 00000000E034: D0480030 00030582
	v_add3_u32 v55, v130, v58, 1                               // 00000000E03C: D1FF0037 02067582
	v_cndmask_b32_e64 v60, v55, v57, s[48:49]                  // 00000000E044: D100003C 00C27337
	v_cmp_u_f32_e64 s[48:49], v131, v131                       // 00000000E04C: D0480030 00030783
	v_add3_u32 v55, v131, v58, 1                               // 00000000E054: D1FF0037 02067583
	v_cndmask_b32_e64 v61, v55, v57, s[48:49]                  // 00000000E05C: D100003D 00C27337
	v_perm_b32 v129, v61, v60, s56                             // 00000000E064: D1ED0081 00E2793D
	s_mov_b32 s56, 0x7060302                                   // 00000000E06C: BEB800FF 07060302
	v_cmp_u_f32_e64 s[48:49], v132, v132                       // 00000000E074: D0480030 00030984
	v_add3_u32 v55, v132, v58, 1                               // 00000000E07C: D1FF0037 02067584
	v_cndmask_b32_e64 v60, v55, v57, s[48:49]                  // 00000000E084: D100003C 00C27337
	v_cmp_u_f32_e64 s[48:49], v133, v133                       // 00000000E08C: D0480030 00030B85
	v_add3_u32 v55, v133, v58, 1                               // 00000000E094: D1FF0037 02067585
	v_cndmask_b32_e64 v61, v55, v57, s[48:49]                  // 00000000E09C: D100003D 00C27337
	v_perm_b32 v130, v61, v60, s56                             // 00000000E0A4: D1ED0082 00E2793D
	s_mov_b32 s56, 0x7060302                                   // 00000000E0AC: BEB800FF 07060302
	v_cmp_u_f32_e64 s[48:49], v134, v134                       // 00000000E0B4: D0480030 00030D86
	v_add3_u32 v55, v134, v58, 1                               // 00000000E0BC: D1FF0037 02067586
	v_cndmask_b32_e64 v60, v55, v57, s[48:49]                  // 00000000E0C4: D100003C 00C27337
	v_cmp_u_f32_e64 s[48:49], v135, v135                       // 00000000E0CC: D0480030 00030F87
	v_add3_u32 v55, v135, v58, 1                               // 00000000E0D4: D1FF0037 02067587
	v_cndmask_b32_e64 v61, v55, v57, s[48:49]                  // 00000000E0DC: D100003D 00C27337
	v_perm_b32 v131, v61, v60, s56                             // 00000000E0E4: D1ED0083 00E2793D
	s_mov_b32 s56, 0x7060302                                   // 00000000E0EC: BEB800FF 07060302
	v_cmp_u_f32_e64 s[48:49], v136, v136                       // 00000000E0F4: D0480030 00031188
	v_add3_u32 v55, v136, v58, 1                               // 00000000E0FC: D1FF0037 02067588
	v_cndmask_b32_e64 v60, v55, v57, s[48:49]                  // 00000000E104: D100003C 00C27337
	v_cmp_u_f32_e64 s[48:49], v137, v137                       // 00000000E10C: D0480030 00031389
	v_add3_u32 v55, v137, v58, 1                               // 00000000E114: D1FF0037 02067589
	v_cndmask_b32_e64 v61, v55, v57, s[48:49]                  // 00000000E11C: D100003D 00C27337
	v_perm_b32 v132, v61, v60, s56                             // 00000000E124: D1ED0084 00E2793D
	s_mov_b32 s56, 0x7060302                                   // 00000000E12C: BEB800FF 07060302
	v_cmp_u_f32_e64 s[48:49], v138, v138                       // 00000000E134: D0480030 0003158A
	v_add3_u32 v55, v138, v58, 1                               // 00000000E13C: D1FF0037 0206758A
	v_cndmask_b32_e64 v60, v55, v57, s[48:49]                  // 00000000E144: D100003C 00C27337
	v_cmp_u_f32_e64 s[48:49], v139, v139                       // 00000000E14C: D0480030 0003178B
	v_add3_u32 v55, v139, v58, 1                               // 00000000E154: D1FF0037 0206758B
	v_cndmask_b32_e64 v61, v55, v57, s[48:49]                  // 00000000E15C: D100003D 00C27337
	v_perm_b32 v133, v61, v60, s56                             // 00000000E164: D1ED0085 00E2793D
	s_mov_b32 s56, 0x7060302                                   // 00000000E16C: BEB800FF 07060302
	v_cmp_u_f32_e64 s[48:49], v140, v140                       // 00000000E174: D0480030 0003198C
	v_add3_u32 v55, v140, v58, 1                               // 00000000E17C: D1FF0037 0206758C
	v_cndmask_b32_e64 v60, v55, v57, s[48:49]                  // 00000000E184: D100003C 00C27337
	v_cmp_u_f32_e64 s[48:49], v141, v141                       // 00000000E18C: D0480030 00031B8D
	v_add3_u32 v55, v141, v58, 1                               // 00000000E194: D1FF0037 0206758D
	v_cndmask_b32_e64 v61, v55, v57, s[48:49]                  // 00000000E19C: D100003D 00C27337
	v_perm_b32 v134, v61, v60, s56                             // 00000000E1A4: D1ED0086 00E2793D
	s_mov_b32 s56, 0x7060302                                   // 00000000E1AC: BEB800FF 07060302
	v_cmp_u_f32_e64 s[48:49], v142, v142                       // 00000000E1B4: D0480030 00031D8E
	v_add3_u32 v55, v142, v58, 1                               // 00000000E1BC: D1FF0037 0206758E
	v_cndmask_b32_e64 v60, v55, v57, s[48:49]                  // 00000000E1C4: D100003C 00C27337
	v_cmp_u_f32_e64 s[48:49], v143, v143                       // 00000000E1CC: D0480030 00031F8F
	v_add3_u32 v55, v143, v58, 1                               // 00000000E1D4: D1FF0037 0206758F
	v_cndmask_b32_e64 v61, v55, v57, s[48:49]                  // 00000000E1DC: D100003D 00C27337
	v_perm_b32 v135, v61, v60, s56                             // 00000000E1E4: D1ED0087 00E2793D
	s_mov_b32 s56, 0x7060302                                   // 00000000E1EC: BEB800FF 07060302
	v_cmp_u_f32_e64 s[48:49], v144, v144                       // 00000000E1F4: D0480030 00032190
	v_add3_u32 v55, v144, v58, 1                               // 00000000E1FC: D1FF0037 02067590
	v_cndmask_b32_e64 v60, v55, v57, s[48:49]                  // 00000000E204: D100003C 00C27337
	v_cmp_u_f32_e64 s[48:49], v145, v145                       // 00000000E20C: D0480030 00032391
	v_add3_u32 v55, v145, v58, 1                               // 00000000E214: D1FF0037 02067591
	v_cndmask_b32_e64 v61, v55, v57, s[48:49]                  // 00000000E21C: D100003D 00C27337
	v_perm_b32 v136, v61, v60, s56                             // 00000000E224: D1ED0088 00E2793D
	s_mov_b32 s56, 0x7060302                                   // 00000000E22C: BEB800FF 07060302
	v_cmp_u_f32_e64 s[48:49], v146, v146                       // 00000000E234: D0480030 00032592
	v_add3_u32 v55, v146, v58, 1                               // 00000000E23C: D1FF0037 02067592
	v_cndmask_b32_e64 v60, v55, v57, s[48:49]                  // 00000000E244: D100003C 00C27337
	v_cmp_u_f32_e64 s[48:49], v147, v147                       // 00000000E24C: D0480030 00032793
	v_add3_u32 v55, v147, v58, 1                               // 00000000E254: D1FF0037 02067593
	v_cndmask_b32_e64 v61, v55, v57, s[48:49]                  // 00000000E25C: D100003D 00C27337
	v_perm_b32 v137, v61, v60, s56                             // 00000000E264: D1ED0089 00E2793D
	s_mov_b32 s56, 0x7060302                                   // 00000000E26C: BEB800FF 07060302
	v_cmp_u_f32_e64 s[48:49], v148, v148                       // 00000000E274: D0480030 00032994
	v_add3_u32 v55, v148, v58, 1                               // 00000000E27C: D1FF0037 02067594
	v_cndmask_b32_e64 v60, v55, v57, s[48:49]                  // 00000000E284: D100003C 00C27337
	v_cmp_u_f32_e64 s[48:49], v149, v149                       // 00000000E28C: D0480030 00032B95
	v_add3_u32 v55, v149, v58, 1                               // 00000000E294: D1FF0037 02067595
	v_cndmask_b32_e64 v61, v55, v57, s[48:49]                  // 00000000E29C: D100003D 00C27337
	v_perm_b32 v138, v61, v60, s56                             // 00000000E2A4: D1ED008A 00E2793D
	s_mov_b32 s56, 0x7060302                                   // 00000000E2AC: BEB800FF 07060302
	v_cmp_u_f32_e64 s[48:49], v150, v150                       // 00000000E2B4: D0480030 00032D96
	v_add3_u32 v55, v150, v58, 1                               // 00000000E2BC: D1FF0037 02067596
	v_cndmask_b32_e64 v60, v55, v57, s[48:49]                  // 00000000E2C4: D100003C 00C27337
	v_cmp_u_f32_e64 s[48:49], v151, v151                       // 00000000E2CC: D0480030 00032F97
	v_add3_u32 v55, v151, v58, 1                               // 00000000E2D4: D1FF0037 02067597
	v_cndmask_b32_e64 v61, v55, v57, s[48:49]                  // 00000000E2DC: D100003D 00C27337
	v_perm_b32 v139, v61, v60, s56                             // 00000000E2E4: D1ED008B 00E2793D
	s_mov_b32 s56, 0x7060302                                   // 00000000E2EC: BEB800FF 07060302
	v_cmp_u_f32_e64 s[48:49], v152, v152                       // 00000000E2F4: D0480030 00033198
	v_add3_u32 v55, v152, v58, 1                               // 00000000E2FC: D1FF0037 02067598
	v_cndmask_b32_e64 v60, v55, v57, s[48:49]                  // 00000000E304: D100003C 00C27337
	v_cmp_u_f32_e64 s[48:49], v153, v153                       // 00000000E30C: D0480030 00033399
	v_add3_u32 v55, v153, v58, 1                               // 00000000E314: D1FF0037 02067599
	v_cndmask_b32_e64 v61, v55, v57, s[48:49]                  // 00000000E31C: D100003D 00C27337
	v_perm_b32 v140, v61, v60, s56                             // 00000000E324: D1ED008C 00E2793D
	s_mov_b32 s56, 0x7060302                                   // 00000000E32C: BEB800FF 07060302
	v_cmp_u_f32_e64 s[48:49], v154, v154                       // 00000000E334: D0480030 0003359A
	v_add3_u32 v55, v154, v58, 1                               // 00000000E33C: D1FF0037 0206759A
	v_cndmask_b32_e64 v60, v55, v57, s[48:49]                  // 00000000E344: D100003C 00C27337
	v_cmp_u_f32_e64 s[48:49], v155, v155                       // 00000000E34C: D0480030 0003379B
	v_add3_u32 v55, v155, v58, 1                               // 00000000E354: D1FF0037 0206759B
	v_cndmask_b32_e64 v61, v55, v57, s[48:49]                  // 00000000E35C: D100003D 00C27337
	v_perm_b32 v141, v61, v60, s56                             // 00000000E364: D1ED008D 00E2793D
	s_mov_b32 s56, 0x7060302                                   // 00000000E36C: BEB800FF 07060302
	v_cmp_u_f32_e64 s[48:49], v156, v156                       // 00000000E374: D0480030 0003399C
	v_add3_u32 v55, v156, v58, 1                               // 00000000E37C: D1FF0037 0206759C
	v_cndmask_b32_e64 v60, v55, v57, s[48:49]                  // 00000000E384: D100003C 00C27337
	v_cmp_u_f32_e64 s[48:49], v157, v157                       // 00000000E38C: D0480030 00033B9D
	v_add3_u32 v55, v157, v58, 1                               // 00000000E394: D1FF0037 0206759D
	v_cndmask_b32_e64 v61, v55, v57, s[48:49]                  // 00000000E39C: D100003D 00C27337
	v_perm_b32 v142, v61, v60, s56                             // 00000000E3A4: D1ED008E 00E2793D
	s_mov_b32 s56, 0x7060302                                   // 00000000E3AC: BEB800FF 07060302
	v_cmp_u_f32_e64 s[48:49], v158, v158                       // 00000000E3B4: D0480030 00033D9E
	v_add3_u32 v55, v158, v58, 1                               // 00000000E3BC: D1FF0037 0206759E
	v_cndmask_b32_e64 v60, v55, v57, s[48:49]                  // 00000000E3C4: D100003C 00C27337
	v_cmp_u_f32_e64 s[48:49], v159, v159                       // 00000000E3CC: D0480030 00033F9F
	v_add3_u32 v55, v159, v58, 1                               // 00000000E3D4: D1FF0037 0206759F
	v_cndmask_b32_e64 v61, v55, v57, s[48:49]                  // 00000000E3DC: D100003D 00C27337
	v_perm_b32 v143, v61, v60, s56                             // 00000000E3E4: D1ED008F 00E2793D
	s_mov_b32 s56, 0x7060302                                   // 00000000E3EC: BEB800FF 07060302
	v_cmp_u_f32_e64 s[48:49], v160, v160                       // 00000000E3F4: D0480030 000341A0
	v_add3_u32 v55, v160, v58, 1                               // 00000000E3FC: D1FF0037 020675A0
	v_cndmask_b32_e64 v60, v55, v57, s[48:49]                  // 00000000E404: D100003C 00C27337
	v_cmp_u_f32_e64 s[48:49], v161, v161                       // 00000000E40C: D0480030 000343A1
	v_add3_u32 v55, v161, v58, 1                               // 00000000E414: D1FF0037 020675A1
	v_cndmask_b32_e64 v61, v55, v57, s[48:49]                  // 00000000E41C: D100003D 00C27337
	v_perm_b32 v144, v61, v60, s56                             // 00000000E424: D1ED0090 00E2793D
	s_mov_b32 s56, 0x7060302                                   // 00000000E42C: BEB800FF 07060302
	v_cmp_u_f32_e64 s[48:49], v162, v162                       // 00000000E434: D0480030 000345A2
	v_add3_u32 v55, v162, v58, 1                               // 00000000E43C: D1FF0037 020675A2
	v_cndmask_b32_e64 v60, v55, v57, s[48:49]                  // 00000000E444: D100003C 00C27337
	v_cmp_u_f32_e64 s[48:49], v163, v163                       // 00000000E44C: D0480030 000347A3
	v_add3_u32 v55, v163, v58, 1                               // 00000000E454: D1FF0037 020675A3
	v_cndmask_b32_e64 v61, v55, v57, s[48:49]                  // 00000000E45C: D100003D 00C27337
	v_perm_b32 v145, v61, v60, s56                             // 00000000E464: D1ED0091 00E2793D
	s_mov_b32 s56, 0x7060302                                   // 00000000E46C: BEB800FF 07060302
	v_cmp_u_f32_e64 s[48:49], v164, v164                       // 00000000E474: D0480030 000349A4
	v_add3_u32 v55, v164, v58, 1                               // 00000000E47C: D1FF0037 020675A4
	v_cndmask_b32_e64 v60, v55, v57, s[48:49]                  // 00000000E484: D100003C 00C27337
	v_cmp_u_f32_e64 s[48:49], v165, v165                       // 00000000E48C: D0480030 00034BA5
	v_add3_u32 v55, v165, v58, 1                               // 00000000E494: D1FF0037 020675A5
	v_cndmask_b32_e64 v61, v55, v57, s[48:49]                  // 00000000E49C: D100003D 00C27337
	v_perm_b32 v146, v61, v60, s56                             // 00000000E4A4: D1ED0092 00E2793D
	s_mov_b32 s56, 0x7060302                                   // 00000000E4AC: BEB800FF 07060302
	v_cmp_u_f32_e64 s[48:49], v166, v166                       // 00000000E4B4: D0480030 00034DA6
	v_add3_u32 v55, v166, v58, 1                               // 00000000E4BC: D1FF0037 020675A6
	v_cndmask_b32_e64 v60, v55, v57, s[48:49]                  // 00000000E4C4: D100003C 00C27337
	v_cmp_u_f32_e64 s[48:49], v167, v167                       // 00000000E4CC: D0480030 00034FA7
	v_add3_u32 v55, v167, v58, 1                               // 00000000E4D4: D1FF0037 020675A7
	v_cndmask_b32_e64 v61, v55, v57, s[48:49]                  // 00000000E4DC: D100003D 00C27337
	v_perm_b32 v147, v61, v60, s56                             // 00000000E4E4: D1ED0093 00E2793D
	s_mov_b32 s56, 0x7060302                                   // 00000000E4EC: BEB800FF 07060302
	v_cmp_u_f32_e64 s[48:49], v168, v168                       // 00000000E4F4: D0480030 000351A8
	v_add3_u32 v55, v168, v58, 1                               // 00000000E4FC: D1FF0037 020675A8
	v_cndmask_b32_e64 v60, v55, v57, s[48:49]                  // 00000000E504: D100003C 00C27337
	v_cmp_u_f32_e64 s[48:49], v169, v169                       // 00000000E50C: D0480030 000353A9
	v_add3_u32 v55, v169, v58, 1                               // 00000000E514: D1FF0037 020675A9
	v_cndmask_b32_e64 v61, v55, v57, s[48:49]                  // 00000000E51C: D100003D 00C27337
	v_perm_b32 v148, v61, v60, s56                             // 00000000E524: D1ED0094 00E2793D
	s_mov_b32 s56, 0x7060302                                   // 00000000E52C: BEB800FF 07060302
	v_cmp_u_f32_e64 s[48:49], v170, v170                       // 00000000E534: D0480030 000355AA
	v_add3_u32 v55, v170, v58, 1                               // 00000000E53C: D1FF0037 020675AA
	v_cndmask_b32_e64 v60, v55, v57, s[48:49]                  // 00000000E544: D100003C 00C27337
	v_cmp_u_f32_e64 s[48:49], v171, v171                       // 00000000E54C: D0480030 000357AB
	v_add3_u32 v55, v171, v58, 1                               // 00000000E554: D1FF0037 020675AB
	v_cndmask_b32_e64 v61, v55, v57, s[48:49]                  // 00000000E55C: D100003D 00C27337
	v_perm_b32 v149, v61, v60, s56                             // 00000000E564: D1ED0095 00E2793D
	s_mov_b32 s56, 0x7060302                                   // 00000000E56C: BEB800FF 07060302
	v_cmp_u_f32_e64 s[48:49], v172, v172                       // 00000000E574: D0480030 000359AC
	v_add3_u32 v55, v172, v58, 1                               // 00000000E57C: D1FF0037 020675AC
	v_cndmask_b32_e64 v60, v55, v57, s[48:49]                  // 00000000E584: D100003C 00C27337
	v_cmp_u_f32_e64 s[48:49], v173, v173                       // 00000000E58C: D0480030 00035BAD
	v_add3_u32 v55, v173, v58, 1                               // 00000000E594: D1FF0037 020675AD
	v_cndmask_b32_e64 v61, v55, v57, s[48:49]                  // 00000000E59C: D100003D 00C27337
	v_perm_b32 v150, v61, v60, s56                             // 00000000E5A4: D1ED0096 00E2793D
	s_mov_b32 s56, 0x7060302                                   // 00000000E5AC: BEB800FF 07060302
	v_cmp_u_f32_e64 s[48:49], v174, v174                       // 00000000E5B4: D0480030 00035DAE
	v_add3_u32 v55, v174, v58, 1                               // 00000000E5BC: D1FF0037 020675AE
	v_cndmask_b32_e64 v60, v55, v57, s[48:49]                  // 00000000E5C4: D100003C 00C27337
	v_cmp_u_f32_e64 s[48:49], v175, v175                       // 00000000E5CC: D0480030 00035FAF
	v_add3_u32 v55, v175, v58, 1                               // 00000000E5D4: D1FF0037 020675AF
	v_cndmask_b32_e64 v61, v55, v57, s[48:49]                  // 00000000E5DC: D100003D 00C27337
	v_perm_b32 v151, v61, v60, s56                             // 00000000E5E4: D1ED0097 00E2793D
	s_mov_b32 s56, 0x7060302                                   // 00000000E5EC: BEB800FF 07060302
	v_cmp_u_f32_e64 s[48:49], v176, v176                       // 00000000E5F4: D0480030 000361B0
	v_add3_u32 v55, v176, v58, 1                               // 00000000E5FC: D1FF0037 020675B0
	v_cndmask_b32_e64 v60, v55, v57, s[48:49]                  // 00000000E604: D100003C 00C27337
	v_cmp_u_f32_e64 s[48:49], v177, v177                       // 00000000E60C: D0480030 000363B1
	v_add3_u32 v55, v177, v58, 1                               // 00000000E614: D1FF0037 020675B1
	v_cndmask_b32_e64 v61, v55, v57, s[48:49]                  // 00000000E61C: D100003D 00C27337
	v_perm_b32 v152, v61, v60, s56                             // 00000000E624: D1ED0098 00E2793D
	s_mov_b32 s56, 0x7060302                                   // 00000000E62C: BEB800FF 07060302
	v_cmp_u_f32_e64 s[48:49], v178, v178                       // 00000000E634: D0480030 000365B2
	v_add3_u32 v55, v178, v58, 1                               // 00000000E63C: D1FF0037 020675B2
	v_cndmask_b32_e64 v60, v55, v57, s[48:49]                  // 00000000E644: D100003C 00C27337
	v_cmp_u_f32_e64 s[48:49], v179, v179                       // 00000000E64C: D0480030 000367B3
	v_add3_u32 v55, v179, v58, 1                               // 00000000E654: D1FF0037 020675B3
	v_cndmask_b32_e64 v61, v55, v57, s[48:49]                  // 00000000E65C: D100003D 00C27337
	v_perm_b32 v153, v61, v60, s56                             // 00000000E664: D1ED0099 00E2793D
	s_mov_b32 s56, 0x7060302                                   // 00000000E66C: BEB800FF 07060302
	v_cmp_u_f32_e64 s[48:49], v180, v180                       // 00000000E674: D0480030 000369B4
	v_add3_u32 v55, v180, v58, 1                               // 00000000E67C: D1FF0037 020675B4
	v_cndmask_b32_e64 v60, v55, v57, s[48:49]                  // 00000000E684: D100003C 00C27337
	v_cmp_u_f32_e64 s[48:49], v181, v181                       // 00000000E68C: D0480030 00036BB5
	v_add3_u32 v55, v181, v58, 1                               // 00000000E694: D1FF0037 020675B5
	v_cndmask_b32_e64 v61, v55, v57, s[48:49]                  // 00000000E69C: D100003D 00C27337
	v_perm_b32 v154, v61, v60, s56                             // 00000000E6A4: D1ED009A 00E2793D
	s_mov_b32 s56, 0x7060302                                   // 00000000E6AC: BEB800FF 07060302
	v_cmp_u_f32_e64 s[48:49], v182, v182                       // 00000000E6B4: D0480030 00036DB6
	v_add3_u32 v55, v182, v58, 1                               // 00000000E6BC: D1FF0037 020675B6
	v_cndmask_b32_e64 v60, v55, v57, s[48:49]                  // 00000000E6C4: D100003C 00C27337
	v_cmp_u_f32_e64 s[48:49], v183, v183                       // 00000000E6CC: D0480030 00036FB7
	v_add3_u32 v55, v183, v58, 1                               // 00000000E6D4: D1FF0037 020675B7
	v_cndmask_b32_e64 v61, v55, v57, s[48:49]                  // 00000000E6DC: D100003D 00C27337
	v_perm_b32 v155, v61, v60, s56                             // 00000000E6E4: D1ED009B 00E2793D
	s_mov_b32 s56, 0x7060302                                   // 00000000E6EC: BEB800FF 07060302
	v_cmp_u_f32_e64 s[48:49], v184, v184                       // 00000000E6F4: D0480030 000371B8
	v_add3_u32 v55, v184, v58, 1                               // 00000000E6FC: D1FF0037 020675B8
	v_cndmask_b32_e64 v60, v55, v57, s[48:49]                  // 00000000E704: D100003C 00C27337
	v_cmp_u_f32_e64 s[48:49], v185, v185                       // 00000000E70C: D0480030 000373B9
	v_add3_u32 v55, v185, v58, 1                               // 00000000E714: D1FF0037 020675B9
	v_cndmask_b32_e64 v61, v55, v57, s[48:49]                  // 00000000E71C: D100003D 00C27337
	v_perm_b32 v156, v61, v60, s56                             // 00000000E724: D1ED009C 00E2793D
	s_mov_b32 s56, 0x7060302                                   // 00000000E72C: BEB800FF 07060302
	v_cmp_u_f32_e64 s[48:49], v186, v186                       // 00000000E734: D0480030 000375BA
	v_add3_u32 v55, v186, v58, 1                               // 00000000E73C: D1FF0037 020675BA
	v_cndmask_b32_e64 v60, v55, v57, s[48:49]                  // 00000000E744: D100003C 00C27337
	v_cmp_u_f32_e64 s[48:49], v187, v187                       // 00000000E74C: D0480030 000377BB
	v_add3_u32 v55, v187, v58, 1                               // 00000000E754: D1FF0037 020675BB
	v_cndmask_b32_e64 v61, v55, v57, s[48:49]                  // 00000000E75C: D100003D 00C27337
	v_perm_b32 v157, v61, v60, s56                             // 00000000E764: D1ED009D 00E2793D
	s_mov_b32 s56, 0x7060302                                   // 00000000E76C: BEB800FF 07060302
	v_cmp_u_f32_e64 s[48:49], v188, v188                       // 00000000E774: D0480030 000379BC
	v_add3_u32 v55, v188, v58, 1                               // 00000000E77C: D1FF0037 020675BC
	v_cndmask_b32_e64 v60, v55, v57, s[48:49]                  // 00000000E784: D100003C 00C27337
	v_cmp_u_f32_e64 s[48:49], v189, v189                       // 00000000E78C: D0480030 00037BBD
	v_add3_u32 v55, v189, v58, 1                               // 00000000E794: D1FF0037 020675BD
	v_cndmask_b32_e64 v61, v55, v57, s[48:49]                  // 00000000E79C: D100003D 00C27337
	v_perm_b32 v158, v61, v60, s56                             // 00000000E7A4: D1ED009E 00E2793D
	s_mov_b32 s56, 0x7060302                                   // 00000000E7AC: BEB800FF 07060302
	v_cmp_u_f32_e64 s[48:49], v190, v190                       // 00000000E7B4: D0480030 00037DBE
	v_add3_u32 v55, v190, v58, 1                               // 00000000E7BC: D1FF0037 020675BE
	v_cndmask_b32_e64 v60, v55, v57, s[48:49]                  // 00000000E7C4: D100003C 00C27337
	v_cmp_u_f32_e64 s[48:49], v191, v191                       // 00000000E7CC: D0480030 00037FBF
	v_add3_u32 v55, v191, v58, 1                               // 00000000E7D4: D1FF0037 020675BF
	v_cndmask_b32_e64 v61, v55, v57, s[48:49]                  // 00000000E7DC: D100003D 00C27337
	v_perm_b32 v159, v61, v60, s56                             // 00000000E7E4: D1ED009F 00E2793D
	ds_write_b64 v4, v[128:129]                                // 00000000E7EC: D89A0000 00008004
	ds_write_b64 v4, v[130:131] offset:8704                    // 00000000E7F4: D89A2200 00008204
	ds_write_b64 v5, v[132:133]                                // 00000000E7FC: D89A0000 00008405
	ds_write_b64 v5, v[134:135] offset:8704                    // 00000000E804: D89A2200 00008605
	ds_write_b64 v4, v[136:137] offset:2176                    // 00000000E80C: D89A0880 00008804
	ds_write_b64 v4, v[138:139] offset:10880                   // 00000000E814: D89A2A80 00008A04
	ds_write_b64 v5, v[140:141] offset:2176                    // 00000000E81C: D89A0880 00008C05
	ds_write_b64 v5, v[142:143] offset:10880                   // 00000000E824: D89A2A80 00008E05
	ds_write_b64 v4, v[144:145] offset:4352                    // 00000000E82C: D89A1100 00009004
	ds_write_b64 v4, v[146:147] offset:13056                   // 00000000E834: D89A3300 00009204
	ds_write_b64 v5, v[148:149] offset:4352                    // 00000000E83C: D89A1100 00009405
	ds_write_b64 v5, v[150:151] offset:13056                   // 00000000E844: D89A3300 00009605
	ds_write_b64 v4, v[152:153] offset:6528                    // 00000000E84C: D89A1980 00009804
	ds_write_b64 v4, v[154:155] offset:15232                   // 00000000E854: D89A3B80 00009A04
	ds_write_b64 v5, v[156:157] offset:6528                    // 00000000E85C: D89A1980 00009C05
	ds_write_b64 v5, v[158:159] offset:15232                   // 00000000E864: D89A3B80 00009E05
	s_waitcnt lgkmcnt(0)                                       // 00000000E86C: BF8CC07F
	s_barrier                                                  // 00000000E870: BF8A0000
	ds_read_b32 v64, v6                                        // 00000000E874: D86C0000 40000006
	ds_read_b32 v65, v6 offset:4352                            // 00000000E87C: D86C1100 41000006
	ds_read_b32 v66, v6 offset:32                              // 00000000E884: D86C0020 42000006
	ds_read_b32 v67, v6 offset:4384                            // 00000000E88C: D86C1120 43000006
	ds_read_b32 v68, v6 offset:64                              // 00000000E894: D86C0040 44000006
	ds_read_b32 v69, v6 offset:4416                            // 00000000E89C: D86C1140 45000006
	ds_read_b32 v70, v6 offset:96                              // 00000000E8A4: D86C0060 46000006
	ds_read_b32 v71, v6 offset:4448                            // 00000000E8AC: D86C1160 47000006
	ds_read_b32 v72, v6 offset:8704                            // 00000000E8B4: D86C2200 48000006
	ds_read_b32 v73, v6 offset:13056                           // 00000000E8BC: D86C3300 49000006
	ds_read_b32 v74, v6 offset:8736                            // 00000000E8C4: D86C2220 4A000006
	ds_read_b32 v75, v6 offset:13088                           // 00000000E8CC: D86C3320 4B000006
	ds_read_b32 v76, v6 offset:8768                            // 00000000E8D4: D86C2240 4C000006
	ds_read_b32 v77, v6 offset:13120                           // 00000000E8DC: D86C3340 4D000006
	ds_read_b32 v78, v6 offset:8800                            // 00000000E8E4: D86C2260 4E000006
	ds_read_b32 v79, v6 offset:13152                           // 00000000E8EC: D86C3360 4F000006
	ds_read_b32 v80, v7                                        // 00000000E8F4: D86C0000 50000007
	ds_read_b32 v81, v7 offset:4352                            // 00000000E8FC: D86C1100 51000007
	ds_read_b32 v82, v7 offset:32                              // 00000000E904: D86C0020 52000007
	ds_read_b32 v83, v7 offset:4384                            // 00000000E90C: D86C1120 53000007
	ds_read_b32 v84, v7 offset:64                              // 00000000E914: D86C0040 54000007
	ds_read_b32 v85, v7 offset:4416                            // 00000000E91C: D86C1140 55000007
	ds_read_b32 v86, v7 offset:96                              // 00000000E924: D86C0060 56000007
	ds_read_b32 v87, v7 offset:4448                            // 00000000E92C: D86C1160 57000007
	ds_read_b32 v88, v7 offset:8704                            // 00000000E934: D86C2200 58000007
	ds_read_b32 v89, v7 offset:13056                           // 00000000E93C: D86C3300 59000007
	ds_read_b32 v90, v7 offset:8736                            // 00000000E944: D86C2220 5A000007
	ds_read_b32 v91, v7 offset:13088                           // 00000000E94C: D86C3320 5B000007
	ds_read_b32 v92, v7 offset:8768                            // 00000000E954: D86C2240 5C000007
	ds_read_b32 v93, v7 offset:13120                           // 00000000E95C: D86C3340 5D000007
	ds_read_b32 v94, v7 offset:8800                            // 00000000E964: D86C2260 5E000007
	ds_read_b32 v95, v7 offset:13152                           // 00000000E96C: D86C3360 5F000007
	s_waitcnt lgkmcnt(0)                                       // 00000000E974: BF8CC07F
	s_setvskip s20, 0                                          // 00000000E978: BF108014
	global_atomic_pk_add_bf16 v96, v64, s[8:9]                 // 00000000E97C: DD488000 00084060
	s_setvskip 0, 0                                            // 00000000E984: BF108080
	s_setvskip s20, 0                                          // 00000000E988: BF108014
	global_atomic_pk_add_bf16 v96, v65, s[8:9] offset:256      // 00000000E98C: DD488100 00084160
	s_setvskip 0, 0                                            // 00000000E994: BF108080
	s_setvskip s20, 1                                          // 00000000E998: BF108114
	global_atomic_pk_add_bf16 v98, v66, s[8:9]                 // 00000000E99C: DD488000 00084262
	s_setvskip 0, 0                                            // 00000000E9A4: BF108080
	s_setvskip s20, 1                                          // 00000000E9A8: BF108114
	global_atomic_pk_add_bf16 v98, v67, s[8:9] offset:256      // 00000000E9AC: DD488100 00084362
	s_setvskip 0, 0                                            // 00000000E9B4: BF108080
	s_setvskip s20, 2                                          // 00000000E9B8: BF108214
	global_atomic_pk_add_bf16 v100, v68, s[8:9]                // 00000000E9BC: DD488000 00084464
	s_setvskip 0, 0                                            // 00000000E9C4: BF108080
	s_setvskip s20, 2                                          // 00000000E9C8: BF108214
	global_atomic_pk_add_bf16 v100, v69, s[8:9] offset:256     // 00000000E9CC: DD488100 00084564
	s_setvskip 0, 0                                            // 00000000E9D4: BF108080
	s_setvskip s20, 3                                          // 00000000E9D8: BF108314
	global_atomic_pk_add_bf16 v102, v70, s[8:9]                // 00000000E9DC: DD488000 00084666
	s_setvskip 0, 0                                            // 00000000E9E4: BF108080
	s_setvskip s20, 3                                          // 00000000E9E8: BF108314
	global_atomic_pk_add_bf16 v102, v71, s[8:9] offset:256     // 00000000E9EC: DD488100 00084766
	s_setvskip 0, 0                                            // 00000000E9F4: BF108080
	s_setvskip s20, 4                                          // 00000000E9F8: BF108414
	global_atomic_pk_add_bf16 v104, v72, s[8:9]                // 00000000E9FC: DD488000 00084868
	s_setvskip 0, 0                                            // 00000000EA04: BF108080
	s_setvskip s20, 4                                          // 00000000EA08: BF108414
	global_atomic_pk_add_bf16 v104, v73, s[8:9] offset:256     // 00000000EA0C: DD488100 00084968
	s_setvskip 0, 0                                            // 00000000EA14: BF108080
	s_setvskip s20, 5                                          // 00000000EA18: BF108514
	global_atomic_pk_add_bf16 v106, v74, s[8:9]                // 00000000EA1C: DD488000 00084A6A
	s_setvskip 0, 0                                            // 00000000EA24: BF108080
	s_setvskip s20, 5                                          // 00000000EA28: BF108514
	global_atomic_pk_add_bf16 v106, v75, s[8:9] offset:256     // 00000000EA2C: DD488100 00084B6A
	s_setvskip 0, 0                                            // 00000000EA34: BF108080
	s_setvskip s20, 6                                          // 00000000EA38: BF108614
	global_atomic_pk_add_bf16 v108, v76, s[8:9]                // 00000000EA3C: DD488000 00084C6C
	s_setvskip 0, 0                                            // 00000000EA44: BF108080
	s_setvskip s20, 6                                          // 00000000EA48: BF108614
	global_atomic_pk_add_bf16 v108, v77, s[8:9] offset:256     // 00000000EA4C: DD488100 00084D6C
	s_setvskip 0, 0                                            // 00000000EA54: BF108080
	s_setvskip s20, 7                                          // 00000000EA58: BF108714
	global_atomic_pk_add_bf16 v110, v78, s[8:9]                // 00000000EA5C: DD488000 00084E6E
	s_setvskip 0, 0                                            // 00000000EA64: BF108080
	s_setvskip s20, 7                                          // 00000000EA68: BF108714
	global_atomic_pk_add_bf16 v110, v79, s[8:9] offset:256     // 00000000EA6C: DD488100 00084F6E
	s_setvskip 0, 0                                            // 00000000EA74: BF108080
	s_setvskip s20, 8                                          // 00000000EA78: BF108814
	global_atomic_pk_add_bf16 v112, v80, s[8:9]                // 00000000EA7C: DD488000 00085070
	s_setvskip 0, 0                                            // 00000000EA84: BF108080
	s_setvskip s20, 8                                          // 00000000EA88: BF108814
	global_atomic_pk_add_bf16 v112, v81, s[8:9] offset:256     // 00000000EA8C: DD488100 00085170
	s_setvskip 0, 0                                            // 00000000EA94: BF108080
	s_setvskip s20, 9                                          // 00000000EA98: BF108914
	global_atomic_pk_add_bf16 v114, v82, s[8:9]                // 00000000EA9C: DD488000 00085272
	s_setvskip 0, 0                                            // 00000000EAA4: BF108080
	s_setvskip s20, 9                                          // 00000000EAA8: BF108914
	global_atomic_pk_add_bf16 v114, v83, s[8:9] offset:256     // 00000000EAAC: DD488100 00085372
	s_setvskip 0, 0                                            // 00000000EAB4: BF108080
	s_setvskip s20, 10                                         // 00000000EAB8: BF108A14
	global_atomic_pk_add_bf16 v116, v84, s[8:9]                // 00000000EABC: DD488000 00085474
	s_setvskip 0, 0                                            // 00000000EAC4: BF108080
	s_setvskip s20, 10                                         // 00000000EAC8: BF108A14
	global_atomic_pk_add_bf16 v116, v85, s[8:9] offset:256     // 00000000EACC: DD488100 00085574
	s_setvskip 0, 0                                            // 00000000EAD4: BF108080
	s_setvskip s20, 11                                         // 00000000EAD8: BF108B14
	global_atomic_pk_add_bf16 v118, v86, s[8:9]                // 00000000EADC: DD488000 00085676
	s_setvskip 0, 0                                            // 00000000EAE4: BF108080
	s_setvskip s20, 11                                         // 00000000EAE8: BF108B14
	global_atomic_pk_add_bf16 v118, v87, s[8:9] offset:256     // 00000000EAEC: DD488100 00085776
	s_setvskip 0, 0                                            // 00000000EAF4: BF108080
	s_setvskip s20, 12                                         // 00000000EAF8: BF108C14
	global_atomic_pk_add_bf16 v120, v88, s[8:9]                // 00000000EAFC: DD488000 00085878
	s_setvskip 0, 0                                            // 00000000EB04: BF108080
	s_setvskip s20, 12                                         // 00000000EB08: BF108C14
	global_atomic_pk_add_bf16 v120, v89, s[8:9] offset:256     // 00000000EB0C: DD488100 00085978
	s_setvskip 0, 0                                            // 00000000EB14: BF108080
	s_setvskip s20, 13                                         // 00000000EB18: BF108D14
	global_atomic_pk_add_bf16 v122, v90, s[8:9]                // 00000000EB1C: DD488000 00085A7A
	s_setvskip 0, 0                                            // 00000000EB24: BF108080
	s_setvskip s20, 13                                         // 00000000EB28: BF108D14
	global_atomic_pk_add_bf16 v122, v91, s[8:9] offset:256     // 00000000EB2C: DD488100 00085B7A
	s_setvskip 0, 0                                            // 00000000EB34: BF108080
	s_setvskip s20, 14                                         // 00000000EB38: BF108E14
	global_atomic_pk_add_bf16 v124, v92, s[8:9]                // 00000000EB3C: DD488000 00085C7C
	s_setvskip 0, 0                                            // 00000000EB44: BF108080
	s_setvskip s20, 14                                         // 00000000EB48: BF108E14
	global_atomic_pk_add_bf16 v124, v93, s[8:9] offset:256     // 00000000EB4C: DD488100 00085D7C
	s_setvskip 0, 0                                            // 00000000EB54: BF108080
	s_setvskip s20, 15                                         // 00000000EB58: BF108F14
	global_atomic_pk_add_bf16 v126, v94, s[8:9]                // 00000000EB5C: DD488000 00085E7E
	s_setvskip 0, 0                                            // 00000000EB64: BF108080
	s_setvskip s20, 15                                         // 00000000EB68: BF108F14
	global_atomic_pk_add_bf16 v126, v95, s[8:9] offset:256     // 00000000EB6C: DD488100 00085F7E
	s_setvskip 0, 0                                            // 00000000EB74: BF108080
	s_add_u32 s8, s55, s8                                      // 00000000EB78: 80080837
	s_addc_u32 s9, 0, s9                                       // 00000000EB7C: 82090980
	s_addk_i32 s76, 0x100                                      // 00000000EB80: B74C0100
	s_cmp_lt_i32 s76, s77                                      // 00000000EB84: BF044D4C
	s_cbranch_scc0 label_1C2F                                  // 00000000EB88: BF84ECCC
	s_waitcnt vmcnt(12)                                        // 00000000EB8C: BF8C0F7C
	s_barrier                                                  // 00000000EB90: BF8A0000
	v_mfma_f32_16x16x32_fp8_fp8 v[192:195], a[64:65], a[128:129], 0// 00000000EB94: D3F300C0 1A030140
	buffer_load_dwordx4 a[0:3], v51, s[12:15], 0 offen         // 00000000EB9C: E05C1000 80830033
	v_mfma_f32_16x16x32_fp8_fp8 v[192:195], a[66:67], a[130:131], v[192:195]// 00000000EBA4: D3F300C0 1F030542
	v_mfma_f32_16x16x32_fp8_fp8 v[196:199], a[64:65], a[144:145], 0// 00000000EBAC: D3F300C4 1A032140
	buffer_load_dword v37, v8, s[16:19], 0 offen               // 00000000EBB4: E0501000 80042508
	v_mfma_f32_16x16x32_fp8_fp8 v[196:199], a[66:67], a[146:147], v[196:199]// 00000000EBBC: D3F300C4 1F132542
	v_mfma_f32_16x16x32_fp8_fp8 v[200:203], a[64:65], a[160:161], 0// 00000000EBC4: D3F300C8 1A034140
	buffer_load_dwordx4 a[4:7], v52, s[12:15], 0 offen         // 00000000EBCC: E05C1000 80830434
	v_mfma_f32_16x16x32_fp8_fp8 v[200:203], a[66:67], a[162:163], v[200:203]// 00000000EBD4: D3F300C8 1F234542
	v_mfma_f32_16x16x32_fp8_fp8 v[204:207], a[64:65], a[176:177], 0// 00000000EBDC: D3F300CC 1A036140
	v_mfma_f32_16x16x32_fp8_fp8 v[204:207], a[66:67], a[178:179], v[204:207]// 00000000EBE4: D3F300CC 1F336542
	v_mfma_f32_16x16x32_fp8_fp8 v[208:211], a[68:69], a[128:129], 0// 00000000EBEC: D3F300D0 1A030144
	buffer_load_dwordx4 a[8:11], v53, s[12:15], 0 offen        // 00000000EBF4: E05C1000 80830835
	v_mfma_f32_16x16x32_fp8_fp8 v[208:211], a[70:71], a[130:131], v[208:211]// 00000000EBFC: D3F300D0 1F430546
	v_mfma_f32_16x16x32_fp8_fp8 v[212:215], a[68:69], a[144:145], 0// 00000000EC04: D3F300D4 1A032144
	v_mfma_f32_16x16x32_fp8_fp8 v[212:215], a[70:71], a[146:147], v[212:215]// 00000000EC0C: D3F300D4 1F532546
	v_mfma_f32_16x16x32_fp8_fp8 v[216:219], a[68:69], a[160:161], 0// 00000000EC14: D3F300D8 1A034144
	buffer_load_dwordx4 a[12:15], v54, s[12:15], 0 offen       // 00000000EC1C: E05C1000 80830C36
	s_add_u32 s12, s74, s12                                    // 00000000EC24: 800C0C4A
	s_addc_u32 s13, 0, s13                                     // 00000000EC28: 820D0D80
	v_mfma_f32_16x16x32_fp8_fp8 v[216:219], a[70:71], a[162:163], v[216:219]// 00000000EC2C: D3F300D8 1F634546
	v_mfma_f32_16x16x32_fp8_fp8 v[220:223], a[68:69], a[176:177], 0// 00000000EC34: D3F300DC 1A036144
	v_mfma_f32_16x16x32_fp8_fp8 v[220:223], a[70:71], a[178:179], v[220:223]// 00000000EC3C: D3F300DC 1F736546
	s_waitcnt vmcnt(13)                                        // 00000000EC44: BF8C0F7D
	v_mfma_f32_16x16x32_fp8_fp8 v[224:227], a[72:73], a[128:129], 0// 00000000EC48: D3F300E0 1A030148
	buffer_load_dwordx4 a[16:19], v51, s[12:15], 0 offen       // 00000000EC50: E05C1000 80831033
	v_mfma_f32_16x16x32_fp8_fp8 v[224:227], a[74:75], a[130:131], v[224:227]// 00000000EC58: D3F300E0 1F83054A
	v_mfma_f32_16x16x32_fp8_fp8 v[228:231], a[72:73], a[144:145], 0// 00000000EC60: D3F300E4 1A032148
	v_mfma_f32_16x16x32_fp8_fp8 v[228:231], a[74:75], a[146:147], v[228:231]// 00000000EC68: D3F300E4 1F93254A
	v_mfma_f32_16x16x32_fp8_fp8 v[232:235], a[72:73], a[160:161], 0// 00000000EC70: D3F300E8 1A034148
	buffer_load_dwordx4 a[20:23], v52, s[12:15], 0 offen       // 00000000EC78: E05C1000 80831434
	v_mfma_f32_16x16x32_fp8_fp8 v[232:235], a[74:75], a[162:163], v[232:235]// 00000000EC80: D3F300E8 1FA3454A
	v_mfma_f32_16x16x32_fp8_fp8 v[236:239], a[72:73], a[176:177], 0// 00000000EC88: D3F300EC 1A036148
	v_mfma_f32_16x16x32_fp8_fp8 v[236:239], a[74:75], a[178:179], v[236:239]// 00000000EC90: D3F300EC 1FB3654A
	v_mfma_f32_16x16x32_fp8_fp8 v[240:243], a[76:77], a[128:129], 0// 00000000EC98: D3F300F0 1A03014C
	buffer_load_dwordx4 a[24:27], v53, s[12:15], 0 offen       // 00000000ECA0: E05C1000 80831835
	v_mfma_f32_16x16x32_fp8_fp8 v[240:243], a[78:79], a[130:131], v[240:243]// 00000000ECA8: D3F300F0 1FC3054E
	v_mfma_f32_16x16x32_fp8_fp8 v[244:247], a[76:77], a[144:145], 0// 00000000ECB0: D3F300F4 1A03214C
	v_mfma_f32_16x16x32_fp8_fp8 v[244:247], a[78:79], a[146:147], v[244:247]// 00000000ECB8: D3F300F4 1FD3254E
	v_mfma_f32_16x16x32_fp8_fp8 v[248:251], a[76:77], a[160:161], 0// 00000000ECC0: D3F300F8 1A03414C
	buffer_load_dwordx4 a[28:31], v54, s[12:15], 0 offen       // 00000000ECC8: E05C1000 80831C36
	s_add_u32 s12, s74, s12                                    // 00000000ECD0: 800C0C4A
	s_addc_u32 s13, 0, s13                                     // 00000000ECD4: 820D0D80
	v_mfma_f32_16x16x32_fp8_fp8 v[248:251], a[78:79], a[162:163], v[248:251]// 00000000ECD8: D3F300F8 1FE3454E
	v_mfma_f32_16x16x32_fp8_fp8 v[252:255], a[76:77], a[176:177], 0// 00000000ECE0: D3F300FC 1A03614C
	v_mfma_f32_16x16x32_fp8_fp8 v[252:255], a[78:79], a[178:179], v[252:255]// 00000000ECE8: D3F300FC 1FF3654E
	s_waitcnt vmcnt(13)                                        // 00000000ECF0: BF8C0F7D
	v_mfma_f32_16x16x32_fp8_fp8 v[192:195], a[80:81], a[132:133], v[192:195]// 00000000ECF4: D3F300C0 1F030950
	buffer_load_dwordx4 a[32:35], v51, s[12:15], 0 offen       // 00000000ECFC: E05C1000 80832033
	v_mfma_f32_16x16x32_fp8_fp8 v[192:195], a[82:83], a[134:135], v[192:195]// 00000000ED04: D3F300C0 1F030D52
	v_mfma_f32_16x16x32_fp8_fp8 v[196:199], a[80:81], a[148:149], v[196:199]// 00000000ED0C: D3F300C4 1F132950
	v_mfma_f32_16x16x32_fp8_fp8 v[196:199], a[82:83], a[150:151], v[196:199]// 00000000ED14: D3F300C4 1F132D52
	v_mfma_f32_16x16x32_fp8_fp8 v[200:203], a[80:81], a[164:165], v[200:203]// 00000000ED1C: D3F300C8 1F234950
	buffer_load_dwordx4 a[36:39], v52, s[12:15], 0 offen       // 00000000ED24: E05C1000 80832434
	v_mfma_f32_16x16x32_fp8_fp8 v[200:203], a[82:83], a[166:167], v[200:203]// 00000000ED2C: D3F300C8 1F234D52
	v_mfma_f32_16x16x32_fp8_fp8 v[204:207], a[80:81], a[180:181], v[204:207]// 00000000ED34: D3F300CC 1F336950
	v_mfma_f32_16x16x32_fp8_fp8 v[204:207], a[82:83], a[182:183], v[204:207]// 00000000ED3C: D3F300CC 1F336D52
	v_mfma_f32_16x16x32_fp8_fp8 v[208:211], a[84:85], a[132:133], v[208:211]// 00000000ED44: D3F300D0 1F430954
	buffer_load_dwordx4 a[40:43], v53, s[12:15], 0 offen       // 00000000ED4C: E05C1000 80832835
	v_mfma_f32_16x16x32_fp8_fp8 v[208:211], a[86:87], a[134:135], v[208:211]// 00000000ED54: D3F300D0 1F430D56
	v_mfma_f32_16x16x32_fp8_fp8 v[212:215], a[84:85], a[148:149], v[212:215]// 00000000ED5C: D3F300D4 1F532954
	v_mfma_f32_16x16x32_fp8_fp8 v[212:215], a[86:87], a[150:151], v[212:215]// 00000000ED64: D3F300D4 1F532D56
	v_mfma_f32_16x16x32_fp8_fp8 v[216:219], a[84:85], a[164:165], v[216:219]// 00000000ED6C: D3F300D8 1F634954
	buffer_load_dwordx4 a[44:47], v54, s[12:15], 0 offen       // 00000000ED74: E05C1000 80832C36
	s_add_u32 s12, s74, s12                                    // 00000000ED7C: 800C0C4A
	s_addc_u32 s13, 0, s13                                     // 00000000ED80: 820D0D80
	v_mfma_f32_16x16x32_fp8_fp8 v[216:219], a[86:87], a[166:167], v[216:219]// 00000000ED84: D3F300D8 1F634D56
	v_mfma_f32_16x16x32_fp8_fp8 v[220:223], a[84:85], a[180:181], v[220:223]// 00000000ED8C: D3F300DC 1F736954
	v_mfma_f32_16x16x32_fp8_fp8 v[220:223], a[86:87], a[182:183], v[220:223]// 00000000ED94: D3F300DC 1F736D56
	s_waitcnt vmcnt(13)                                        // 00000000ED9C: BF8C0F7D
	v_mfma_f32_16x16x32_fp8_fp8 v[224:227], a[88:89], a[132:133], v[224:227]// 00000000EDA0: D3F300E0 1F830958
	buffer_load_dwordx4 a[48:51], v51, s[12:15], 0 offen       // 00000000EDA8: E05C1000 80833033
	v_mfma_f32_16x16x32_fp8_fp8 v[224:227], a[90:91], a[134:135], v[224:227]// 00000000EDB0: D3F300E0 1F830D5A
	v_mfma_f32_16x16x32_fp8_fp8 v[228:231], a[88:89], a[148:149], v[228:231]// 00000000EDB8: D3F300E4 1F932958
	v_mfma_f32_16x16x32_fp8_fp8 v[228:231], a[90:91], a[150:151], v[228:231]// 00000000EDC0: D3F300E4 1F932D5A
	v_mfma_f32_16x16x32_fp8_fp8 v[232:235], a[88:89], a[164:165], v[232:235]// 00000000EDC8: D3F300E8 1FA34958
	buffer_load_dwordx4 a[52:55], v52, s[12:15], 0 offen       // 00000000EDD0: E05C1000 80833434
	v_mfma_f32_16x16x32_fp8_fp8 v[232:235], a[90:91], a[166:167], v[232:235]// 00000000EDD8: D3F300E8 1FA34D5A
	v_mfma_f32_16x16x32_fp8_fp8 v[236:239], a[88:89], a[180:181], v[236:239]// 00000000EDE0: D3F300EC 1FB36958
	v_mfma_f32_16x16x32_fp8_fp8 v[236:239], a[90:91], a[182:183], v[236:239]// 00000000EDE8: D3F300EC 1FB36D5A
	v_mfma_f32_16x16x32_fp8_fp8 v[240:243], a[92:93], a[132:133], v[240:243]// 00000000EDF0: D3F300F0 1FC3095C
	buffer_load_dwordx4 a[56:59], v53, s[12:15], 0 offen       // 00000000EDF8: E05C1000 80833835
	v_mfma_f32_16x16x32_fp8_fp8 v[240:243], a[94:95], a[134:135], v[240:243]// 00000000EE00: D3F300F0 1FC30D5E
	v_mfma_f32_16x16x32_fp8_fp8 v[244:247], a[92:93], a[148:149], v[244:247]// 00000000EE08: D3F300F4 1FD3295C
	v_mfma_f32_16x16x32_fp8_fp8 v[244:247], a[94:95], a[150:151], v[244:247]// 00000000EE10: D3F300F4 1FD32D5E
	v_mfma_f32_16x16x32_fp8_fp8 v[248:251], a[92:93], a[164:165], v[248:251]// 00000000EE18: D3F300F8 1FE3495C
	buffer_load_dwordx4 a[60:63], v54, s[12:15], 0 offen       // 00000000EE20: E05C1000 80833C36
	v_mfma_f32_16x16x32_fp8_fp8 v[248:251], a[94:95], a[166:167], v[248:251]// 00000000EE28: D3F300F8 1FE34D5E
	v_mfma_f32_16x16x32_fp8_fp8 v[252:255], a[92:93], a[180:181], v[252:255]// 00000000EE30: D3F300FC 1FF3695C
	v_mfma_f32_16x16x32_fp8_fp8 v[252:255], a[94:95], a[182:183], v[252:255]// 00000000EE38: D3F300FC 1FF36D5E
	v_mul_f32_dpp v60, v38, v21 row_newbcast:0 row_mask:0xf bank_mask:0xf// 00000000EE40: 0A782AFA FF015026
	v_mov_b32_e32 v61, v60                                     // 00000000EE48: 7E7A033C
	v_pk_mul_f32 v[192:193], v[60:61], v[192:193]              // 00000000EE4C: D3B140C0 1803813C
	v_pk_mul_f32 v[194:195], v[60:61], v[194:195]              // 00000000EE54: D3B140C2 1803853C
	v_pk_mul_f32 v[208:209], v[60:61], v[208:209]              // 00000000EE5C: D3B140D0 1803A13C
	v_pk_mul_f32 v[210:211], v[60:61], v[210:211]              // 00000000EE64: D3B140D2 1803A53C
	v_mul_f32_dpp v60, v38, v21 row_newbcast:1 row_mask:0xf bank_mask:0xf// 00000000EE6C: 0A782AFA FF015126
	v_mov_b32_e32 v61, v60                                     // 00000000EE74: 7E7A033C
	v_pk_mul_f32 v[224:225], v[60:61], v[224:225]              // 00000000EE78: D3B140E0 1803C13C
	v_pk_mul_f32 v[226:227], v[60:61], v[226:227]              // 00000000EE80: D3B140E2 1803C53C
	v_pk_mul_f32 v[240:241], v[60:61], v[240:241]              // 00000000EE88: D3B140F0 1803E13C
	v_pk_mul_f32 v[242:243], v[60:61], v[242:243]              // 00000000EE90: D3B140F2 1803E53C
	v_mul_f32_dpp v60, v38, v22 row_newbcast:0 row_mask:0xf bank_mask:0xf// 00000000EE98: 0A782CFA FF015026
	v_mov_b32_e32 v61, v60                                     // 00000000EEA0: 7E7A033C
	v_pk_mul_f32 v[196:197], v[60:61], v[196:197]              // 00000000EEA4: D3B140C4 1803893C
	v_pk_mul_f32 v[198:199], v[60:61], v[198:199]              // 00000000EEAC: D3B140C6 18038D3C
	v_pk_mul_f32 v[212:213], v[60:61], v[212:213]              // 00000000EEB4: D3B140D4 1803A93C
	v_pk_mul_f32 v[214:215], v[60:61], v[214:215]              // 00000000EEBC: D3B140D6 1803AD3C
	v_mul_f32_dpp v60, v38, v22 row_newbcast:1 row_mask:0xf bank_mask:0xf// 00000000EEC4: 0A782CFA FF015126
	v_mov_b32_e32 v61, v60                                     // 00000000EECC: 7E7A033C
	v_pk_mul_f32 v[228:229], v[60:61], v[228:229]              // 00000000EED0: D3B140E4 1803C93C
	v_pk_mul_f32 v[230:231], v[60:61], v[230:231]              // 00000000EED8: D3B140E6 1803CD3C
	v_pk_mul_f32 v[244:245], v[60:61], v[244:245]              // 00000000EEE0: D3B140F4 1803E93C
	v_pk_mul_f32 v[246:247], v[60:61], v[246:247]              // 00000000EEE8: D3B140F6 1803ED3C
	v_mul_f32_dpp v60, v38, v23 row_newbcast:0 row_mask:0xf bank_mask:0xf// 00000000EEF0: 0A782EFA FF015026
	v_mov_b32_e32 v61, v60                                     // 00000000EEF8: 7E7A033C
	v_pk_mul_f32 v[200:201], v[60:61], v[200:201]              // 00000000EEFC: D3B140C8 1803913C
	v_pk_mul_f32 v[202:203], v[60:61], v[202:203]              // 00000000EF04: D3B140CA 1803953C
	v_pk_mul_f32 v[216:217], v[60:61], v[216:217]              // 00000000EF0C: D3B140D8 1803B13C
	v_pk_mul_f32 v[218:219], v[60:61], v[218:219]              // 00000000EF14: D3B140DA 1803B53C
	v_mul_f32_dpp v60, v38, v23 row_newbcast:1 row_mask:0xf bank_mask:0xf// 00000000EF1C: 0A782EFA FF015126
	v_mov_b32_e32 v61, v60                                     // 00000000EF24: 7E7A033C
	v_pk_mul_f32 v[232:233], v[60:61], v[232:233]              // 00000000EF28: D3B140E8 1803D13C
	v_pk_mul_f32 v[234:235], v[60:61], v[234:235]              // 00000000EF30: D3B140EA 1803D53C
	v_pk_mul_f32 v[248:249], v[60:61], v[248:249]              // 00000000EF38: D3B140F8 1803F13C
	v_pk_mul_f32 v[250:251], v[60:61], v[250:251]              // 00000000EF40: D3B140FA 1803F53C
	v_mul_f32_dpp v60, v38, v24 row_newbcast:0 row_mask:0xf bank_mask:0xf// 00000000EF48: 0A7830FA FF015026
	v_mov_b32_e32 v61, v60                                     // 00000000EF50: 7E7A033C
	v_pk_mul_f32 v[204:205], v[60:61], v[204:205]              // 00000000EF54: D3B140CC 1803993C
	v_pk_mul_f32 v[206:207], v[60:61], v[206:207]              // 00000000EF5C: D3B140CE 18039D3C
	v_pk_mul_f32 v[220:221], v[60:61], v[220:221]              // 00000000EF64: D3B140DC 1803B93C
	v_pk_mul_f32 v[222:223], v[60:61], v[222:223]              // 00000000EF6C: D3B140DE 1803BD3C
	v_mul_f32_dpp v60, v38, v24 row_newbcast:1 row_mask:0xf bank_mask:0xf// 00000000EF74: 0A7830FA FF015126
	v_mov_b32_e32 v61, v60                                     // 00000000EF7C: 7E7A033C
	v_pk_mul_f32 v[236:237], v[60:61], v[236:237]              // 00000000EF80: D3B140EC 1803D93C
	v_pk_mul_f32 v[238:239], v[60:61], v[238:239]              // 00000000EF88: D3B140EE 1803DD3C
	v_pk_mul_f32 v[252:253], v[60:61], v[252:253]              // 00000000EF90: D3B140FC 1803F93C
	v_pk_mul_f32 v[254:255], v[60:61], v[254:255]              // 00000000EF98: D3B140FE 1803FD3C
	s_waitcnt vmcnt(13)                                        // 00000000EFA0: BF8C0F7D
	v_mfma_f32_16x16x32_fp8_fp8 v[128:131], a[96:97], a[136:137], 0// 00000000EFA4: D3F30080 1A031160
	v_mfma_f32_16x16x32_fp8_fp8 v[128:131], a[98:99], a[138:139], v[128:131]// 00000000EFAC: D3F30080 1E031562
	v_mfma_f32_16x16x32_fp8_fp8 v[132:135], a[96:97], a[152:153], 0// 00000000EFB4: D3F30084 1A033160
	v_mfma_f32_16x16x32_fp8_fp8 v[132:135], a[98:99], a[154:155], v[132:135]// 00000000EFBC: D3F30084 1E133562
	v_mfma_f32_16x16x32_fp8_fp8 v[136:139], a[96:97], a[168:169], 0// 00000000EFC4: D3F30088 1A035160
	v_mfma_f32_16x16x32_fp8_fp8 v[136:139], a[98:99], a[170:171], v[136:139]// 00000000EFCC: D3F30088 1E235562
	v_mfma_f32_16x16x32_fp8_fp8 v[140:143], a[96:97], a[184:185], 0// 00000000EFD4: D3F3008C 1A037160
	v_mfma_f32_16x16x32_fp8_fp8 v[140:143], a[98:99], a[186:187], v[140:143]// 00000000EFDC: D3F3008C 1E337562
	v_mfma_f32_16x16x32_fp8_fp8 v[144:147], a[100:101], a[136:137], 0// 00000000EFE4: D3F30090 1A031164
	v_mfma_f32_16x16x32_fp8_fp8 v[144:147], a[102:103], a[138:139], v[144:147]// 00000000EFEC: D3F30090 1E431566
	v_mfma_f32_16x16x32_fp8_fp8 v[148:151], a[100:101], a[152:153], 0// 00000000EFF4: D3F30094 1A033164
	v_mfma_f32_16x16x32_fp8_fp8 v[148:151], a[102:103], a[154:155], v[148:151]// 00000000EFFC: D3F30094 1E533566
	v_mfma_f32_16x16x32_fp8_fp8 v[152:155], a[100:101], a[168:169], 0// 00000000F004: D3F30098 1A035164
	v_mfma_f32_16x16x32_fp8_fp8 v[152:155], a[102:103], a[170:171], v[152:155]// 00000000F00C: D3F30098 1E635566
	v_mfma_f32_16x16x32_fp8_fp8 v[156:159], a[100:101], a[184:185], 0// 00000000F014: D3F3009C 1A037164
	v_mfma_f32_16x16x32_fp8_fp8 v[156:159], a[102:103], a[186:187], v[156:159]// 00000000F01C: D3F3009C 1E737566
	s_waitcnt vmcnt(13)                                        // 00000000F024: BF8C0F7D
	v_mfma_f32_16x16x32_fp8_fp8 v[160:163], a[104:105], a[136:137], 0// 00000000F028: D3F300A0 1A031168
	v_mfma_f32_16x16x32_fp8_fp8 v[160:163], a[106:107], a[138:139], v[160:163]// 00000000F030: D3F300A0 1E83156A
	v_mfma_f32_16x16x32_fp8_fp8 v[164:167], a[104:105], a[152:153], 0// 00000000F038: D3F300A4 1A033168
	v_mfma_f32_16x16x32_fp8_fp8 v[164:167], a[106:107], a[154:155], v[164:167]// 00000000F040: D3F300A4 1E93356A
	v_mfma_f32_16x16x32_fp8_fp8 v[168:171], a[104:105], a[168:169], 0// 00000000F048: D3F300A8 1A035168
	v_mfma_f32_16x16x32_fp8_fp8 v[168:171], a[106:107], a[170:171], v[168:171]// 00000000F050: D3F300A8 1EA3556A
	v_mfma_f32_16x16x32_fp8_fp8 v[172:175], a[104:105], a[184:185], 0// 00000000F058: D3F300AC 1A037168
	v_mfma_f32_16x16x32_fp8_fp8 v[172:175], a[106:107], a[186:187], v[172:175]// 00000000F060: D3F300AC 1EB3756A
	v_mfma_f32_16x16x32_fp8_fp8 v[176:179], a[108:109], a[136:137], 0// 00000000F068: D3F300B0 1A03116C
	v_mfma_f32_16x16x32_fp8_fp8 v[176:179], a[110:111], a[138:139], v[176:179]// 00000000F070: D3F300B0 1EC3156E
	v_mfma_f32_16x16x32_fp8_fp8 v[180:183], a[108:109], a[152:153], 0// 00000000F078: D3F300B4 1A03316C
	v_mfma_f32_16x16x32_fp8_fp8 v[180:183], a[110:111], a[154:155], v[180:183]// 00000000F080: D3F300B4 1ED3356E
	v_mfma_f32_16x16x32_fp8_fp8 v[184:187], a[108:109], a[168:169], 0// 00000000F088: D3F300B8 1A03516C
	v_mfma_f32_16x16x32_fp8_fp8 v[184:187], a[110:111], a[170:171], v[184:187]// 00000000F090: D3F300B8 1EE3556E
	v_mfma_f32_16x16x32_fp8_fp8 v[188:191], a[108:109], a[184:185], 0// 00000000F098: D3F300BC 1A03716C
	v_mfma_f32_16x16x32_fp8_fp8 v[188:191], a[110:111], a[186:187], v[188:191]// 00000000F0A0: D3F300BC 1EF3756E
	s_waitcnt vmcnt(13)                                        // 00000000F0A8: BF8C0F7D
	v_mfma_f32_16x16x32_fp8_fp8 v[128:131], a[112:113], a[140:141], v[128:131]// 00000000F0AC: D3F30080 1E031970
	v_mfma_f32_16x16x32_fp8_fp8 v[128:131], a[114:115], a[142:143], v[128:131]// 00000000F0B4: D3F30080 1E031D72
	v_mfma_f32_16x16x32_fp8_fp8 v[132:135], a[112:113], a[156:157], v[132:135]// 00000000F0BC: D3F30084 1E133970
	v_mfma_f32_16x16x32_fp8_fp8 v[132:135], a[114:115], a[158:159], v[132:135]// 00000000F0C4: D3F30084 1E133D72
	v_mfma_f32_16x16x32_fp8_fp8 v[136:139], a[112:113], a[172:173], v[136:139]// 00000000F0CC: D3F30088 1E235970
	v_mfma_f32_16x16x32_fp8_fp8 v[136:139], a[114:115], a[174:175], v[136:139]// 00000000F0D4: D3F30088 1E235D72
	v_mfma_f32_16x16x32_fp8_fp8 v[140:143], a[112:113], a[188:189], v[140:143]// 00000000F0DC: D3F3008C 1E337970
	v_mfma_f32_16x16x32_fp8_fp8 v[140:143], a[114:115], a[190:191], v[140:143]// 00000000F0E4: D3F3008C 1E337D72
	v_mfma_f32_16x16x32_fp8_fp8 v[144:147], a[116:117], a[140:141], v[144:147]// 00000000F0EC: D3F30090 1E431974
	v_mfma_f32_16x16x32_fp8_fp8 v[144:147], a[118:119], a[142:143], v[144:147]// 00000000F0F4: D3F30090 1E431D76
	v_mfma_f32_16x16x32_fp8_fp8 v[148:151], a[116:117], a[156:157], v[148:151]// 00000000F0FC: D3F30094 1E533974
	v_mfma_f32_16x16x32_fp8_fp8 v[148:151], a[118:119], a[158:159], v[148:151]// 00000000F104: D3F30094 1E533D76
	v_mfma_f32_16x16x32_fp8_fp8 v[152:155], a[116:117], a[172:173], v[152:155]// 00000000F10C: D3F30098 1E635974
	v_mfma_f32_16x16x32_fp8_fp8 v[152:155], a[118:119], a[174:175], v[152:155]// 00000000F114: D3F30098 1E635D76
	v_mfma_f32_16x16x32_fp8_fp8 v[156:159], a[116:117], a[188:189], v[156:159]// 00000000F11C: D3F3009C 1E737974
	v_mfma_f32_16x16x32_fp8_fp8 v[156:159], a[118:119], a[190:191], v[156:159]// 00000000F124: D3F3009C 1E737D76
	s_waitcnt vmcnt(13)                                        // 00000000F12C: BF8C0F7D
	v_mfma_f32_16x16x32_fp8_fp8 v[160:163], a[120:121], a[140:141], v[160:163]// 00000000F130: D3F300A0 1E831978
	v_mfma_f32_16x16x32_fp8_fp8 v[160:163], a[122:123], a[142:143], v[160:163]// 00000000F138: D3F300A0 1E831D7A
	v_mfma_f32_16x16x32_fp8_fp8 v[164:167], a[120:121], a[156:157], v[164:167]// 00000000F140: D3F300A4 1E933978
	v_mfma_f32_16x16x32_fp8_fp8 v[164:167], a[122:123], a[158:159], v[164:167]// 00000000F148: D3F300A4 1E933D7A
	v_mfma_f32_16x16x32_fp8_fp8 v[168:171], a[120:121], a[172:173], v[168:171]// 00000000F150: D3F300A8 1EA35978
	v_mfma_f32_16x16x32_fp8_fp8 v[168:171], a[122:123], a[174:175], v[168:171]// 00000000F158: D3F300A8 1EA35D7A
	v_mfma_f32_16x16x32_fp8_fp8 v[172:175], a[120:121], a[188:189], v[172:175]// 00000000F160: D3F300AC 1EB37978
	v_mfma_f32_16x16x32_fp8_fp8 v[172:175], a[122:123], a[190:191], v[172:175]// 00000000F168: D3F300AC 1EB37D7A
	v_mfma_f32_16x16x32_fp8_fp8 v[176:179], a[124:125], a[140:141], v[176:179]// 00000000F170: D3F300B0 1EC3197C
	v_mfma_f32_16x16x32_fp8_fp8 v[176:179], a[126:127], a[142:143], v[176:179]// 00000000F178: D3F300B0 1EC31D7E
	v_mfma_f32_16x16x32_fp8_fp8 v[180:183], a[124:125], a[156:157], v[180:183]// 00000000F180: D3F300B4 1ED3397C
	v_mfma_f32_16x16x32_fp8_fp8 v[180:183], a[126:127], a[158:159], v[180:183]// 00000000F188: D3F300B4 1ED33D7E
	v_mfma_f32_16x16x32_fp8_fp8 v[184:187], a[124:125], a[172:173], v[184:187]// 00000000F190: D3F300B8 1EE3597C
	v_mfma_f32_16x16x32_fp8_fp8 v[184:187], a[126:127], a[174:175], v[184:187]// 00000000F198: D3F300B8 1EE35D7E
	v_mfma_f32_16x16x32_fp8_fp8 v[188:191], a[124:125], a[188:189], v[188:191]// 00000000F1A0: D3F300BC 1EF3797C
	v_mfma_f32_16x16x32_fp8_fp8 v[188:191], a[126:127], a[190:191], v[188:191]// 00000000F1A8: D3F300BC 1EF37D7E
	v_mul_f32_dpp v60, v38, v25 row_newbcast:2 row_mask:0xf bank_mask:0xf// 00000000F1B0: 0A7832FA FF015226
	v_mov_b32_e32 v61, v60                                     // 00000000F1B8: 7E7A033C
	v_pk_fma_f32 v[192:193], v[128:129], v[60:61], v[192:193]  // 00000000F1BC: D3B040C0 1F027980
	v_pk_fma_f32 v[194:195], v[130:131], v[60:61], v[194:195]  // 00000000F1C4: D3B040C2 1F0A7982
	v_pk_fma_f32 v[208:209], v[144:145], v[60:61], v[208:209]  // 00000000F1CC: D3B040D0 1F427990
	v_pk_fma_f32 v[210:211], v[146:147], v[60:61], v[210:211]  // 00000000F1D4: D3B040D2 1F4A7992
	v_mul_f32_dpp v60, v38, v25 row_newbcast:3 row_mask:0xf bank_mask:0xf// 00000000F1DC: 0A7832FA FF015326
	v_mov_b32_e32 v61, v60                                     // 00000000F1E4: 7E7A033C
	v_pk_fma_f32 v[224:225], v[160:161], v[60:61], v[224:225]  // 00000000F1E8: D3B040E0 1F8279A0
	v_pk_fma_f32 v[226:227], v[162:163], v[60:61], v[226:227]  // 00000000F1F0: D3B040E2 1F8A79A2
	v_pk_fma_f32 v[240:241], v[176:177], v[60:61], v[240:241]  // 00000000F1F8: D3B040F0 1FC279B0
	v_pk_fma_f32 v[242:243], v[178:179], v[60:61], v[242:243]  // 00000000F200: D3B040F2 1FCA79B2
	v_mul_f32_dpp v60, v38, v26 row_newbcast:2 row_mask:0xf bank_mask:0xf// 00000000F208: 0A7834FA FF015226
	v_mov_b32_e32 v61, v60                                     // 00000000F210: 7E7A033C
	v_pk_fma_f32 v[196:197], v[132:133], v[60:61], v[196:197]  // 00000000F214: D3B040C4 1F127984
	v_pk_fma_f32 v[198:199], v[134:135], v[60:61], v[198:199]  // 00000000F21C: D3B040C6 1F1A7986
	v_pk_fma_f32 v[212:213], v[148:149], v[60:61], v[212:213]  // 00000000F224: D3B040D4 1F527994
	v_pk_fma_f32 v[214:215], v[150:151], v[60:61], v[214:215]  // 00000000F22C: D3B040D6 1F5A7996
	v_mul_f32_dpp v60, v38, v26 row_newbcast:3 row_mask:0xf bank_mask:0xf// 00000000F234: 0A7834FA FF015326
	v_mov_b32_e32 v61, v60                                     // 00000000F23C: 7E7A033C
	v_pk_fma_f32 v[228:229], v[164:165], v[60:61], v[228:229]  // 00000000F240: D3B040E4 1F9279A4
	v_pk_fma_f32 v[230:231], v[166:167], v[60:61], v[230:231]  // 00000000F248: D3B040E6 1F9A79A6
	v_pk_fma_f32 v[244:245], v[180:181], v[60:61], v[244:245]  // 00000000F250: D3B040F4 1FD279B4
	v_pk_fma_f32 v[246:247], v[182:183], v[60:61], v[246:247]  // 00000000F258: D3B040F6 1FDA79B6
	v_mul_f32_dpp v60, v38, v27 row_newbcast:2 row_mask:0xf bank_mask:0xf// 00000000F260: 0A7836FA FF015226
	v_mov_b32_e32 v61, v60                                     // 00000000F268: 7E7A033C
	v_pk_fma_f32 v[200:201], v[136:137], v[60:61], v[200:201]  // 00000000F26C: D3B040C8 1F227988
	v_pk_fma_f32 v[202:203], v[138:139], v[60:61], v[202:203]  // 00000000F274: D3B040CA 1F2A798A
	v_pk_fma_f32 v[216:217], v[152:153], v[60:61], v[216:217]  // 00000000F27C: D3B040D8 1F627998
	v_pk_fma_f32 v[218:219], v[154:155], v[60:61], v[218:219]  // 00000000F284: D3B040DA 1F6A799A
	v_mul_f32_dpp v60, v38, v27 row_newbcast:3 row_mask:0xf bank_mask:0xf// 00000000F28C: 0A7836FA FF015326
	v_mov_b32_e32 v61, v60                                     // 00000000F294: 7E7A033C
	v_pk_fma_f32 v[232:233], v[168:169], v[60:61], v[232:233]  // 00000000F298: D3B040E8 1FA279A8
	v_pk_fma_f32 v[234:235], v[170:171], v[60:61], v[234:235]  // 00000000F2A0: D3B040EA 1FAA79AA
	v_pk_fma_f32 v[248:249], v[184:185], v[60:61], v[248:249]  // 00000000F2A8: D3B040F8 1FE279B8
	v_pk_fma_f32 v[250:251], v[186:187], v[60:61], v[250:251]  // 00000000F2B0: D3B040FA 1FEA79BA
	v_mul_f32_dpp v60, v38, v28 row_newbcast:2 row_mask:0xf bank_mask:0xf// 00000000F2B8: 0A7838FA FF015226
	v_mov_b32_e32 v61, v60                                     // 00000000F2C0: 7E7A033C
	v_pk_fma_f32 v[204:205], v[140:141], v[60:61], v[204:205]  // 00000000F2C4: D3B040CC 1F32798C
	v_pk_fma_f32 v[206:207], v[142:143], v[60:61], v[206:207]  // 00000000F2CC: D3B040CE 1F3A798E
	v_pk_fma_f32 v[220:221], v[156:157], v[60:61], v[220:221]  // 00000000F2D4: D3B040DC 1F72799C
	v_pk_fma_f32 v[222:223], v[158:159], v[60:61], v[222:223]  // 00000000F2DC: D3B040DE 1F7A799E
	v_mul_f32_dpp v60, v38, v28 row_newbcast:3 row_mask:0xf bank_mask:0xf// 00000000F2E4: 0A7838FA FF015326
	v_mov_b32_e32 v61, v60                                     // 00000000F2EC: 7E7A033C
	v_pk_fma_f32 v[236:237], v[172:173], v[60:61], v[236:237]  // 00000000F2F0: D3B040EC 1FB279AC
	v_pk_fma_f32 v[238:239], v[174:175], v[60:61], v[238:239]  // 00000000F2F8: D3B040EE 1FBA79AE
	v_pk_fma_f32 v[252:253], v[188:189], v[60:61], v[252:253]  // 00000000F300: D3B040FC 1FF279BC
	v_pk_fma_f32 v[254:255], v[190:191], v[60:61], v[254:255]  // 00000000F308: D3B040FE 1FFA79BE
	s_add_u32 s56, 0x200, s76                                  // 00000000F310: 80384CFF 00000200
	s_cmp_lt_u32 s56, s77                                      // 00000000F318: BF0A4D38
	s_cselect_b32 s52, s52, 0                                  // 00000000F31C: 85348034
	s_cselect_b32 s74, s74, 0                                  // 00000000F320: 854A804A
	s_cselect_b32 s75, s75, 0                                  // 00000000F324: 854B804B
	s_add_u32 s12, s52, s12                                    // 00000000F328: 800C0C34
	s_addc_u32 s13, 0, s13                                     // 00000000F32C: 820D0D80
	s_add_u32 s16, s75, s16                                    // 00000000F330: 8010104B
	s_addc_u32 s17, 0, s17                                     // 00000000F334: 82111180
	v_mov_b32_e32 v60, v39                                     // 00000000F338: 7E780327
	v_mov_b32_e32 v61, v39                                     // 00000000F33C: 7E7A0327
	v_pk_mul_f32 v[192:193], v[60:61], v[192:193]              // 00000000F340: D3B140C0 1803813C
	v_pk_mul_f32 v[194:195], v[60:61], v[194:195]              // 00000000F348: D3B140C2 1803853C
	v_pk_mul_f32 v[208:209], v[60:61], v[208:209]              // 00000000F350: D3B140D0 1803A13C
	v_pk_mul_f32 v[210:211], v[60:61], v[210:211]              // 00000000F358: D3B140D2 1803A53C
	v_pk_mul_f32 v[224:225], v[60:61], v[224:225]              // 00000000F360: D3B140E0 1803C13C
	v_pk_mul_f32 v[226:227], v[60:61], v[226:227]              // 00000000F368: D3B140E2 1803C53C
	v_pk_mul_f32 v[240:241], v[60:61], v[240:241]              // 00000000F370: D3B140F0 1803E13C
	v_pk_mul_f32 v[242:243], v[60:61], v[242:243]              // 00000000F378: D3B140F2 1803E53C
	v_mov_b32_e32 v60, v40                                     // 00000000F380: 7E780328
	v_mov_b32_e32 v61, v40                                     // 00000000F384: 7E7A0328
	v_pk_mul_f32 v[196:197], v[60:61], v[196:197]              // 00000000F388: D3B140C4 1803893C
	v_pk_mul_f32 v[198:199], v[60:61], v[198:199]              // 00000000F390: D3B140C6 18038D3C
	v_pk_mul_f32 v[212:213], v[60:61], v[212:213]              // 00000000F398: D3B140D4 1803A93C
	v_pk_mul_f32 v[214:215], v[60:61], v[214:215]              // 00000000F3A0: D3B140D6 1803AD3C
	v_pk_mul_f32 v[228:229], v[60:61], v[228:229]              // 00000000F3A8: D3B140E4 1803C93C
	v_pk_mul_f32 v[230:231], v[60:61], v[230:231]              // 00000000F3B0: D3B140E6 1803CD3C
	v_pk_mul_f32 v[244:245], v[60:61], v[244:245]              // 00000000F3B8: D3B140F4 1803E93C
	v_pk_mul_f32 v[246:247], v[60:61], v[246:247]              // 00000000F3C0: D3B140F6 1803ED3C
	v_mov_b32_e32 v60, v41                                     // 00000000F3C8: 7E780329
	v_mov_b32_e32 v61, v41                                     // 00000000F3CC: 7E7A0329
	v_pk_mul_f32 v[200:201], v[60:61], v[200:201]              // 00000000F3D0: D3B140C8 1803913C
	v_pk_mul_f32 v[202:203], v[60:61], v[202:203]              // 00000000F3D8: D3B140CA 1803953C
	v_pk_mul_f32 v[216:217], v[60:61], v[216:217]              // 00000000F3E0: D3B140D8 1803B13C
	v_pk_mul_f32 v[218:219], v[60:61], v[218:219]              // 00000000F3E8: D3B140DA 1803B53C
	v_pk_mul_f32 v[232:233], v[60:61], v[232:233]              // 00000000F3F0: D3B140E8 1803D13C
	v_pk_mul_f32 v[234:235], v[60:61], v[234:235]              // 00000000F3F8: D3B140EA 1803D53C
	v_pk_mul_f32 v[248:249], v[60:61], v[248:249]              // 00000000F400: D3B140F8 1803F13C
	v_pk_mul_f32 v[250:251], v[60:61], v[250:251]              // 00000000F408: D3B140FA 1803F53C
	v_mov_b32_e32 v60, v42                                     // 00000000F410: 7E78032A
	v_mov_b32_e32 v61, v42                                     // 00000000F414: 7E7A032A
	v_pk_mul_f32 v[204:205], v[60:61], v[204:205]              // 00000000F418: D3B140CC 1803993C
	v_pk_mul_f32 v[206:207], v[60:61], v[206:207]              // 00000000F420: D3B140CE 18039D3C
	v_pk_mul_f32 v[220:221], v[60:61], v[220:221]              // 00000000F428: D3B140DC 1803B93C
	v_pk_mul_f32 v[222:223], v[60:61], v[222:223]              // 00000000F430: D3B140DE 1803BD3C
	v_pk_mul_f32 v[236:237], v[60:61], v[236:237]              // 00000000F438: D3B140EC 1803D93C
	v_pk_mul_f32 v[238:239], v[60:61], v[238:239]              // 00000000F440: D3B140EE 1803DD3C
	v_pk_mul_f32 v[252:253], v[60:61], v[252:253]              // 00000000F448: D3B140FC 1803F93C
	v_pk_mul_f32 v[254:255], v[60:61], v[254:255]              // 00000000F450: D3B140FE 1803FD3C
	s_mov_b32 s56, 0x7060302                                   // 00000000F458: BEB800FF 07060302
	v_cmp_u_f32_e64 s[48:49], v192, v192                       // 00000000F460: D0480030 000381C0
	v_add3_u32 v55, v192, v58, 1                               // 00000000F468: D1FF0037 020675C0
	v_cndmask_b32_e64 v60, v55, v57, s[48:49]                  // 00000000F470: D100003C 00C27337
	v_cmp_u_f32_e64 s[48:49], v193, v193                       // 00000000F478: D0480030 000383C1
	v_add3_u32 v55, v193, v58, 1                               // 00000000F480: D1FF0037 020675C1
	v_cndmask_b32_e64 v61, v55, v57, s[48:49]                  // 00000000F488: D100003D 00C27337
	v_perm_b32 v192, v61, v60, s56                             // 00000000F490: D1ED00C0 00E2793D
	s_mov_b32 s56, 0x7060302                                   // 00000000F498: BEB800FF 07060302
	v_cmp_u_f32_e64 s[48:49], v194, v194                       // 00000000F4A0: D0480030 000385C2
	v_add3_u32 v55, v194, v58, 1                               // 00000000F4A8: D1FF0037 020675C2
	v_cndmask_b32_e64 v60, v55, v57, s[48:49]                  // 00000000F4B0: D100003C 00C27337
	v_cmp_u_f32_e64 s[48:49], v195, v195                       // 00000000F4B8: D0480030 000387C3
	v_add3_u32 v55, v195, v58, 1                               // 00000000F4C0: D1FF0037 020675C3
	v_cndmask_b32_e64 v61, v55, v57, s[48:49]                  // 00000000F4C8: D100003D 00C27337
	v_perm_b32 v193, v61, v60, s56                             // 00000000F4D0: D1ED00C1 00E2793D
	s_mov_b32 s56, 0x7060302                                   // 00000000F4D8: BEB800FF 07060302
	v_cmp_u_f32_e64 s[48:49], v196, v196                       // 00000000F4E0: D0480030 000389C4
	v_add3_u32 v55, v196, v58, 1                               // 00000000F4E8: D1FF0037 020675C4
	v_cndmask_b32_e64 v60, v55, v57, s[48:49]                  // 00000000F4F0: D100003C 00C27337
	v_cmp_u_f32_e64 s[48:49], v197, v197                       // 00000000F4F8: D0480030 00038BC5
	v_add3_u32 v55, v197, v58, 1                               // 00000000F500: D1FF0037 020675C5
	v_cndmask_b32_e64 v61, v55, v57, s[48:49]                  // 00000000F508: D100003D 00C27337
	v_perm_b32 v194, v61, v60, s56                             // 00000000F510: D1ED00C2 00E2793D
	s_mov_b32 s56, 0x7060302                                   // 00000000F518: BEB800FF 07060302
	v_cmp_u_f32_e64 s[48:49], v198, v198                       // 00000000F520: D0480030 00038DC6
	v_add3_u32 v55, v198, v58, 1                               // 00000000F528: D1FF0037 020675C6
	v_cndmask_b32_e64 v60, v55, v57, s[48:49]                  // 00000000F530: D100003C 00C27337
	v_cmp_u_f32_e64 s[48:49], v199, v199                       // 00000000F538: D0480030 00038FC7
	v_add3_u32 v55, v199, v58, 1                               // 00000000F540: D1FF0037 020675C7
	v_cndmask_b32_e64 v61, v55, v57, s[48:49]                  // 00000000F548: D100003D 00C27337
	v_perm_b32 v195, v61, v60, s56                             // 00000000F550: D1ED00C3 00E2793D
	s_mov_b32 s56, 0x7060302                                   // 00000000F558: BEB800FF 07060302
	v_cmp_u_f32_e64 s[48:49], v200, v200                       // 00000000F560: D0480030 000391C8
	v_add3_u32 v55, v200, v58, 1                               // 00000000F568: D1FF0037 020675C8
	v_cndmask_b32_e64 v60, v55, v57, s[48:49]                  // 00000000F570: D100003C 00C27337
	v_cmp_u_f32_e64 s[48:49], v201, v201                       // 00000000F578: D0480030 000393C9
	v_add3_u32 v55, v201, v58, 1                               // 00000000F580: D1FF0037 020675C9
	v_cndmask_b32_e64 v61, v55, v57, s[48:49]                  // 00000000F588: D100003D 00C27337
	v_perm_b32 v196, v61, v60, s56                             // 00000000F590: D1ED00C4 00E2793D
	s_mov_b32 s56, 0x7060302                                   // 00000000F598: BEB800FF 07060302
	v_cmp_u_f32_e64 s[48:49], v202, v202                       // 00000000F5A0: D0480030 000395CA
	v_add3_u32 v55, v202, v58, 1                               // 00000000F5A8: D1FF0037 020675CA
	v_cndmask_b32_e64 v60, v55, v57, s[48:49]                  // 00000000F5B0: D100003C 00C27337
	v_cmp_u_f32_e64 s[48:49], v203, v203                       // 00000000F5B8: D0480030 000397CB
	v_add3_u32 v55, v203, v58, 1                               // 00000000F5C0: D1FF0037 020675CB
	v_cndmask_b32_e64 v61, v55, v57, s[48:49]                  // 00000000F5C8: D100003D 00C27337
	v_perm_b32 v197, v61, v60, s56                             // 00000000F5D0: D1ED00C5 00E2793D
	s_mov_b32 s56, 0x7060302                                   // 00000000F5D8: BEB800FF 07060302
	v_cmp_u_f32_e64 s[48:49], v204, v204                       // 00000000F5E0: D0480030 000399CC
	v_add3_u32 v55, v204, v58, 1                               // 00000000F5E8: D1FF0037 020675CC
	v_cndmask_b32_e64 v60, v55, v57, s[48:49]                  // 00000000F5F0: D100003C 00C27337
	v_cmp_u_f32_e64 s[48:49], v205, v205                       // 00000000F5F8: D0480030 00039BCD
	v_add3_u32 v55, v205, v58, 1                               // 00000000F600: D1FF0037 020675CD
	v_cndmask_b32_e64 v61, v55, v57, s[48:49]                  // 00000000F608: D100003D 00C27337
	v_perm_b32 v198, v61, v60, s56                             // 00000000F610: D1ED00C6 00E2793D
	s_mov_b32 s56, 0x7060302                                   // 00000000F618: BEB800FF 07060302
	v_cmp_u_f32_e64 s[48:49], v206, v206                       // 00000000F620: D0480030 00039DCE
	v_add3_u32 v55, v206, v58, 1                               // 00000000F628: D1FF0037 020675CE
	v_cndmask_b32_e64 v60, v55, v57, s[48:49]                  // 00000000F630: D100003C 00C27337
	v_cmp_u_f32_e64 s[48:49], v207, v207                       // 00000000F638: D0480030 00039FCF
	v_add3_u32 v55, v207, v58, 1                               // 00000000F640: D1FF0037 020675CF
	v_cndmask_b32_e64 v61, v55, v57, s[48:49]                  // 00000000F648: D100003D 00C27337
	v_perm_b32 v199, v61, v60, s56                             // 00000000F650: D1ED00C7 00E2793D
	s_mov_b32 s56, 0x7060302                                   // 00000000F658: BEB800FF 07060302
	v_cmp_u_f32_e64 s[48:49], v208, v208                       // 00000000F660: D0480030 0003A1D0
	v_add3_u32 v55, v208, v58, 1                               // 00000000F668: D1FF0037 020675D0
	v_cndmask_b32_e64 v60, v55, v57, s[48:49]                  // 00000000F670: D100003C 00C27337
	v_cmp_u_f32_e64 s[48:49], v209, v209                       // 00000000F678: D0480030 0003A3D1
	v_add3_u32 v55, v209, v58, 1                               // 00000000F680: D1FF0037 020675D1
	v_cndmask_b32_e64 v61, v55, v57, s[48:49]                  // 00000000F688: D100003D 00C27337
	v_perm_b32 v200, v61, v60, s56                             // 00000000F690: D1ED00C8 00E2793D
	s_mov_b32 s56, 0x7060302                                   // 00000000F698: BEB800FF 07060302
	v_cmp_u_f32_e64 s[48:49], v210, v210                       // 00000000F6A0: D0480030 0003A5D2
	v_add3_u32 v55, v210, v58, 1                               // 00000000F6A8: D1FF0037 020675D2
	v_cndmask_b32_e64 v60, v55, v57, s[48:49]                  // 00000000F6B0: D100003C 00C27337
	v_cmp_u_f32_e64 s[48:49], v211, v211                       // 00000000F6B8: D0480030 0003A7D3
	v_add3_u32 v55, v211, v58, 1                               // 00000000F6C0: D1FF0037 020675D3
	v_cndmask_b32_e64 v61, v55, v57, s[48:49]                  // 00000000F6C8: D100003D 00C27337
	v_perm_b32 v201, v61, v60, s56                             // 00000000F6D0: D1ED00C9 00E2793D
	s_mov_b32 s56, 0x7060302                                   // 00000000F6D8: BEB800FF 07060302
	v_cmp_u_f32_e64 s[48:49], v212, v212                       // 00000000F6E0: D0480030 0003A9D4
	v_add3_u32 v55, v212, v58, 1                               // 00000000F6E8: D1FF0037 020675D4
	v_cndmask_b32_e64 v60, v55, v57, s[48:49]                  // 00000000F6F0: D100003C 00C27337
	v_cmp_u_f32_e64 s[48:49], v213, v213                       // 00000000F6F8: D0480030 0003ABD5
	v_add3_u32 v55, v213, v58, 1                               // 00000000F700: D1FF0037 020675D5
	v_cndmask_b32_e64 v61, v55, v57, s[48:49]                  // 00000000F708: D100003D 00C27337
	v_perm_b32 v202, v61, v60, s56                             // 00000000F710: D1ED00CA 00E2793D
	s_mov_b32 s56, 0x7060302                                   // 00000000F718: BEB800FF 07060302
	v_cmp_u_f32_e64 s[48:49], v214, v214                       // 00000000F720: D0480030 0003ADD6
	v_add3_u32 v55, v214, v58, 1                               // 00000000F728: D1FF0037 020675D6
	v_cndmask_b32_e64 v60, v55, v57, s[48:49]                  // 00000000F730: D100003C 00C27337
	v_cmp_u_f32_e64 s[48:49], v215, v215                       // 00000000F738: D0480030 0003AFD7
	v_add3_u32 v55, v215, v58, 1                               // 00000000F740: D1FF0037 020675D7
	v_cndmask_b32_e64 v61, v55, v57, s[48:49]                  // 00000000F748: D100003D 00C27337
	v_perm_b32 v203, v61, v60, s56                             // 00000000F750: D1ED00CB 00E2793D
	s_mov_b32 s56, 0x7060302                                   // 00000000F758: BEB800FF 07060302
	v_cmp_u_f32_e64 s[48:49], v216, v216                       // 00000000F760: D0480030 0003B1D8
	v_add3_u32 v55, v216, v58, 1                               // 00000000F768: D1FF0037 020675D8
	v_cndmask_b32_e64 v60, v55, v57, s[48:49]                  // 00000000F770: D100003C 00C27337
	v_cmp_u_f32_e64 s[48:49], v217, v217                       // 00000000F778: D0480030 0003B3D9
	v_add3_u32 v55, v217, v58, 1                               // 00000000F780: D1FF0037 020675D9
	v_cndmask_b32_e64 v61, v55, v57, s[48:49]                  // 00000000F788: D100003D 00C27337
	v_perm_b32 v204, v61, v60, s56                             // 00000000F790: D1ED00CC 00E2793D
	s_mov_b32 s56, 0x7060302                                   // 00000000F798: BEB800FF 07060302
	v_cmp_u_f32_e64 s[48:49], v218, v218                       // 00000000F7A0: D0480030 0003B5DA
	v_add3_u32 v55, v218, v58, 1                               // 00000000F7A8: D1FF0037 020675DA
	v_cndmask_b32_e64 v60, v55, v57, s[48:49]                  // 00000000F7B0: D100003C 00C27337
	v_cmp_u_f32_e64 s[48:49], v219, v219                       // 00000000F7B8: D0480030 0003B7DB
	v_add3_u32 v55, v219, v58, 1                               // 00000000F7C0: D1FF0037 020675DB
	v_cndmask_b32_e64 v61, v55, v57, s[48:49]                  // 00000000F7C8: D100003D 00C27337
	v_perm_b32 v205, v61, v60, s56                             // 00000000F7D0: D1ED00CD 00E2793D
	s_mov_b32 s56, 0x7060302                                   // 00000000F7D8: BEB800FF 07060302
	v_cmp_u_f32_e64 s[48:49], v220, v220                       // 00000000F7E0: D0480030 0003B9DC
	v_add3_u32 v55, v220, v58, 1                               // 00000000F7E8: D1FF0037 020675DC
	v_cndmask_b32_e64 v60, v55, v57, s[48:49]                  // 00000000F7F0: D100003C 00C27337
	v_cmp_u_f32_e64 s[48:49], v221, v221                       // 00000000F7F8: D0480030 0003BBDD
	v_add3_u32 v55, v221, v58, 1                               // 00000000F800: D1FF0037 020675DD
	v_cndmask_b32_e64 v61, v55, v57, s[48:49]                  // 00000000F808: D100003D 00C27337
	v_perm_b32 v206, v61, v60, s56                             // 00000000F810: D1ED00CE 00E2793D
	s_mov_b32 s56, 0x7060302                                   // 00000000F818: BEB800FF 07060302
	v_cmp_u_f32_e64 s[48:49], v222, v222                       // 00000000F820: D0480030 0003BDDE
	v_add3_u32 v55, v222, v58, 1                               // 00000000F828: D1FF0037 020675DE
	v_cndmask_b32_e64 v60, v55, v57, s[48:49]                  // 00000000F830: D100003C 00C27337
	v_cmp_u_f32_e64 s[48:49], v223, v223                       // 00000000F838: D0480030 0003BFDF
	v_add3_u32 v55, v223, v58, 1                               // 00000000F840: D1FF0037 020675DF
	v_cndmask_b32_e64 v61, v55, v57, s[48:49]                  // 00000000F848: D100003D 00C27337
	v_perm_b32 v207, v61, v60, s56                             // 00000000F850: D1ED00CF 00E2793D
	s_mov_b32 s56, 0x7060302                                   // 00000000F858: BEB800FF 07060302
	v_cmp_u_f32_e64 s[48:49], v224, v224                       // 00000000F860: D0480030 0003C1E0
	v_add3_u32 v55, v224, v58, 1                               // 00000000F868: D1FF0037 020675E0
	v_cndmask_b32_e64 v60, v55, v57, s[48:49]                  // 00000000F870: D100003C 00C27337
	v_cmp_u_f32_e64 s[48:49], v225, v225                       // 00000000F878: D0480030 0003C3E1
	v_add3_u32 v55, v225, v58, 1                               // 00000000F880: D1FF0037 020675E1
	v_cndmask_b32_e64 v61, v55, v57, s[48:49]                  // 00000000F888: D100003D 00C27337
	v_perm_b32 v208, v61, v60, s56                             // 00000000F890: D1ED00D0 00E2793D
	s_mov_b32 s56, 0x7060302                                   // 00000000F898: BEB800FF 07060302
	v_cmp_u_f32_e64 s[48:49], v226, v226                       // 00000000F8A0: D0480030 0003C5E2
	v_add3_u32 v55, v226, v58, 1                               // 00000000F8A8: D1FF0037 020675E2
	v_cndmask_b32_e64 v60, v55, v57, s[48:49]                  // 00000000F8B0: D100003C 00C27337
	v_cmp_u_f32_e64 s[48:49], v227, v227                       // 00000000F8B8: D0480030 0003C7E3
	v_add3_u32 v55, v227, v58, 1                               // 00000000F8C0: D1FF0037 020675E3
	v_cndmask_b32_e64 v61, v55, v57, s[48:49]                  // 00000000F8C8: D100003D 00C27337
	v_perm_b32 v209, v61, v60, s56                             // 00000000F8D0: D1ED00D1 00E2793D
	s_mov_b32 s56, 0x7060302                                   // 00000000F8D8: BEB800FF 07060302
	v_cmp_u_f32_e64 s[48:49], v228, v228                       // 00000000F8E0: D0480030 0003C9E4
	v_add3_u32 v55, v228, v58, 1                               // 00000000F8E8: D1FF0037 020675E4
	v_cndmask_b32_e64 v60, v55, v57, s[48:49]                  // 00000000F8F0: D100003C 00C27337
	v_cmp_u_f32_e64 s[48:49], v229, v229                       // 00000000F8F8: D0480030 0003CBE5
	v_add3_u32 v55, v229, v58, 1                               // 00000000F900: D1FF0037 020675E5
	v_cndmask_b32_e64 v61, v55, v57, s[48:49]                  // 00000000F908: D100003D 00C27337
	v_perm_b32 v210, v61, v60, s56                             // 00000000F910: D1ED00D2 00E2793D
	s_mov_b32 s56, 0x7060302                                   // 00000000F918: BEB800FF 07060302
	v_cmp_u_f32_e64 s[48:49], v230, v230                       // 00000000F920: D0480030 0003CDE6
	v_add3_u32 v55, v230, v58, 1                               // 00000000F928: D1FF0037 020675E6
	v_cndmask_b32_e64 v60, v55, v57, s[48:49]                  // 00000000F930: D100003C 00C27337
	v_cmp_u_f32_e64 s[48:49], v231, v231                       // 00000000F938: D0480030 0003CFE7
	v_add3_u32 v55, v231, v58, 1                               // 00000000F940: D1FF0037 020675E7
	v_cndmask_b32_e64 v61, v55, v57, s[48:49]                  // 00000000F948: D100003D 00C27337
	v_perm_b32 v211, v61, v60, s56                             // 00000000F950: D1ED00D3 00E2793D
	s_mov_b32 s56, 0x7060302                                   // 00000000F958: BEB800FF 07060302
	v_cmp_u_f32_e64 s[48:49], v232, v232                       // 00000000F960: D0480030 0003D1E8
	v_add3_u32 v55, v232, v58, 1                               // 00000000F968: D1FF0037 020675E8
	v_cndmask_b32_e64 v60, v55, v57, s[48:49]                  // 00000000F970: D100003C 00C27337
	v_cmp_u_f32_e64 s[48:49], v233, v233                       // 00000000F978: D0480030 0003D3E9
	v_add3_u32 v55, v233, v58, 1                               // 00000000F980: D1FF0037 020675E9
	v_cndmask_b32_e64 v61, v55, v57, s[48:49]                  // 00000000F988: D100003D 00C27337
	v_perm_b32 v212, v61, v60, s56                             // 00000000F990: D1ED00D4 00E2793D
	s_mov_b32 s56, 0x7060302                                   // 00000000F998: BEB800FF 07060302
	v_cmp_u_f32_e64 s[48:49], v234, v234                       // 00000000F9A0: D0480030 0003D5EA
	v_add3_u32 v55, v234, v58, 1                               // 00000000F9A8: D1FF0037 020675EA
	v_cndmask_b32_e64 v60, v55, v57, s[48:49]                  // 00000000F9B0: D100003C 00C27337
	v_cmp_u_f32_e64 s[48:49], v235, v235                       // 00000000F9B8: D0480030 0003D7EB
	v_add3_u32 v55, v235, v58, 1                               // 00000000F9C0: D1FF0037 020675EB
	v_cndmask_b32_e64 v61, v55, v57, s[48:49]                  // 00000000F9C8: D100003D 00C27337
	v_perm_b32 v213, v61, v60, s56                             // 00000000F9D0: D1ED00D5 00E2793D
	s_mov_b32 s56, 0x7060302                                   // 00000000F9D8: BEB800FF 07060302
	v_cmp_u_f32_e64 s[48:49], v236, v236                       // 00000000F9E0: D0480030 0003D9EC
	v_add3_u32 v55, v236, v58, 1                               // 00000000F9E8: D1FF0037 020675EC
	v_cndmask_b32_e64 v60, v55, v57, s[48:49]                  // 00000000F9F0: D100003C 00C27337
	v_cmp_u_f32_e64 s[48:49], v237, v237                       // 00000000F9F8: D0480030 0003DBED
	v_add3_u32 v55, v237, v58, 1                               // 00000000FA00: D1FF0037 020675ED
	v_cndmask_b32_e64 v61, v55, v57, s[48:49]                  // 00000000FA08: D100003D 00C27337
	v_perm_b32 v214, v61, v60, s56                             // 00000000FA10: D1ED00D6 00E2793D
	s_mov_b32 s56, 0x7060302                                   // 00000000FA18: BEB800FF 07060302
	v_cmp_u_f32_e64 s[48:49], v238, v238                       // 00000000FA20: D0480030 0003DDEE
	v_add3_u32 v55, v238, v58, 1                               // 00000000FA28: D1FF0037 020675EE
	v_cndmask_b32_e64 v60, v55, v57, s[48:49]                  // 00000000FA30: D100003C 00C27337
	v_cmp_u_f32_e64 s[48:49], v239, v239                       // 00000000FA38: D0480030 0003DFEF
	v_add3_u32 v55, v239, v58, 1                               // 00000000FA40: D1FF0037 020675EF
	v_cndmask_b32_e64 v61, v55, v57, s[48:49]                  // 00000000FA48: D100003D 00C27337
	v_perm_b32 v215, v61, v60, s56                             // 00000000FA50: D1ED00D7 00E2793D
	s_mov_b32 s56, 0x7060302                                   // 00000000FA58: BEB800FF 07060302
	v_cmp_u_f32_e64 s[48:49], v240, v240                       // 00000000FA60: D0480030 0003E1F0
	v_add3_u32 v55, v240, v58, 1                               // 00000000FA68: D1FF0037 020675F0
	v_cndmask_b32_e64 v60, v55, v57, s[48:49]                  // 00000000FA70: D100003C 00C27337
	v_cmp_u_f32_e64 s[48:49], v241, v241                       // 00000000FA78: D0480030 0003E3F1
	v_add3_u32 v55, v241, v58, 1                               // 00000000FA80: D1FF0037 020675F1
	v_cndmask_b32_e64 v61, v55, v57, s[48:49]                  // 00000000FA88: D100003D 00C27337
	v_perm_b32 v216, v61, v60, s56                             // 00000000FA90: D1ED00D8 00E2793D
	s_mov_b32 s56, 0x7060302                                   // 00000000FA98: BEB800FF 07060302
	v_cmp_u_f32_e64 s[48:49], v242, v242                       // 00000000FAA0: D0480030 0003E5F2
	v_add3_u32 v55, v242, v58, 1                               // 00000000FAA8: D1FF0037 020675F2
	v_cndmask_b32_e64 v60, v55, v57, s[48:49]                  // 00000000FAB0: D100003C 00C27337
	v_cmp_u_f32_e64 s[48:49], v243, v243                       // 00000000FAB8: D0480030 0003E7F3
	v_add3_u32 v55, v243, v58, 1                               // 00000000FAC0: D1FF0037 020675F3
	v_cndmask_b32_e64 v61, v55, v57, s[48:49]                  // 00000000FAC8: D100003D 00C27337
	v_perm_b32 v217, v61, v60, s56                             // 00000000FAD0: D1ED00D9 00E2793D
	s_mov_b32 s56, 0x7060302                                   // 00000000FAD8: BEB800FF 07060302
	v_cmp_u_f32_e64 s[48:49], v244, v244                       // 00000000FAE0: D0480030 0003E9F4
	v_add3_u32 v55, v244, v58, 1                               // 00000000FAE8: D1FF0037 020675F4
	v_cndmask_b32_e64 v60, v55, v57, s[48:49]                  // 00000000FAF0: D100003C 00C27337
	v_cmp_u_f32_e64 s[48:49], v245, v245                       // 00000000FAF8: D0480030 0003EBF5
	v_add3_u32 v55, v245, v58, 1                               // 00000000FB00: D1FF0037 020675F5
	v_cndmask_b32_e64 v61, v55, v57, s[48:49]                  // 00000000FB08: D100003D 00C27337
	v_perm_b32 v218, v61, v60, s56                             // 00000000FB10: D1ED00DA 00E2793D
	s_mov_b32 s56, 0x7060302                                   // 00000000FB18: BEB800FF 07060302
	v_cmp_u_f32_e64 s[48:49], v246, v246                       // 00000000FB20: D0480030 0003EDF6
	v_add3_u32 v55, v246, v58, 1                               // 00000000FB28: D1FF0037 020675F6
	v_cndmask_b32_e64 v60, v55, v57, s[48:49]                  // 00000000FB30: D100003C 00C27337
	v_cmp_u_f32_e64 s[48:49], v247, v247                       // 00000000FB38: D0480030 0003EFF7
	v_add3_u32 v55, v247, v58, 1                               // 00000000FB40: D1FF0037 020675F7
	v_cndmask_b32_e64 v61, v55, v57, s[48:49]                  // 00000000FB48: D100003D 00C27337
	v_perm_b32 v219, v61, v60, s56                             // 00000000FB50: D1ED00DB 00E2793D
	s_mov_b32 s56, 0x7060302                                   // 00000000FB58: BEB800FF 07060302
	v_cmp_u_f32_e64 s[48:49], v248, v248                       // 00000000FB60: D0480030 0003F1F8
	v_add3_u32 v55, v248, v58, 1                               // 00000000FB68: D1FF0037 020675F8
	v_cndmask_b32_e64 v60, v55, v57, s[48:49]                  // 00000000FB70: D100003C 00C27337
	v_cmp_u_f32_e64 s[48:49], v249, v249                       // 00000000FB78: D0480030 0003F3F9
	v_add3_u32 v55, v249, v58, 1                               // 00000000FB80: D1FF0037 020675F9
	v_cndmask_b32_e64 v61, v55, v57, s[48:49]                  // 00000000FB88: D100003D 00C27337
	v_perm_b32 v220, v61, v60, s56                             // 00000000FB90: D1ED00DC 00E2793D
	s_mov_b32 s56, 0x7060302                                   // 00000000FB98: BEB800FF 07060302
	v_cmp_u_f32_e64 s[48:49], v250, v250                       // 00000000FBA0: D0480030 0003F5FA
	v_add3_u32 v55, v250, v58, 1                               // 00000000FBA8: D1FF0037 020675FA
	v_cndmask_b32_e64 v60, v55, v57, s[48:49]                  // 00000000FBB0: D100003C 00C27337
	v_cmp_u_f32_e64 s[48:49], v251, v251                       // 00000000FBB8: D0480030 0003F7FB
	v_add3_u32 v55, v251, v58, 1                               // 00000000FBC0: D1FF0037 020675FB
	v_cndmask_b32_e64 v61, v55, v57, s[48:49]                  // 00000000FBC8: D100003D 00C27337
	v_perm_b32 v221, v61, v60, s56                             // 00000000FBD0: D1ED00DD 00E2793D
	s_mov_b32 s56, 0x7060302                                   // 00000000FBD8: BEB800FF 07060302
	v_cmp_u_f32_e64 s[48:49], v252, v252                       // 00000000FBE0: D0480030 0003F9FC
	v_add3_u32 v55, v252, v58, 1                               // 00000000FBE8: D1FF0037 020675FC
	v_cndmask_b32_e64 v60, v55, v57, s[48:49]                  // 00000000FBF0: D100003C 00C27337
	v_cmp_u_f32_e64 s[48:49], v253, v253                       // 00000000FBF8: D0480030 0003FBFD
	v_add3_u32 v55, v253, v58, 1                               // 00000000FC00: D1FF0037 020675FD
	v_cndmask_b32_e64 v61, v55, v57, s[48:49]                  // 00000000FC08: D100003D 00C27337
	v_perm_b32 v222, v61, v60, s56                             // 00000000FC10: D1ED00DE 00E2793D
	s_mov_b32 s56, 0x7060302                                   // 00000000FC18: BEB800FF 07060302
	v_cmp_u_f32_e64 s[48:49], v254, v254                       // 00000000FC20: D0480030 0003FDFE
	v_add3_u32 v55, v254, v58, 1                               // 00000000FC28: D1FF0037 020675FE
	v_cndmask_b32_e64 v60, v55, v57, s[48:49]                  // 00000000FC30: D100003C 00C27337
	v_cmp_u_f32_e64 s[48:49], v255, v255                       // 00000000FC38: D0480030 0003FFFF
	v_add3_u32 v55, v255, v58, 1                               // 00000000FC40: D1FF0037 020675FF
	v_cndmask_b32_e64 v61, v55, v57, s[48:49]                  // 00000000FC48: D100003D 00C27337
	v_perm_b32 v223, v61, v60, s56                             // 00000000FC50: D1ED00DF 00E2793D
	ds_write_b64 v4, v[192:193]                                // 00000000FC58: D89A0000 0000C004
	ds_write_b64 v4, v[194:195] offset:8704                    // 00000000FC60: D89A2200 0000C204
	ds_write_b64 v5, v[196:197]                                // 00000000FC68: D89A0000 0000C405
	ds_write_b64 v5, v[198:199] offset:8704                    // 00000000FC70: D89A2200 0000C605
	ds_write_b64 v4, v[200:201] offset:2176                    // 00000000FC78: D89A0880 0000C804
	ds_write_b64 v4, v[202:203] offset:10880                   // 00000000FC80: D89A2A80 0000CA04
	ds_write_b64 v5, v[204:205] offset:2176                    // 00000000FC88: D89A0880 0000CC05
	ds_write_b64 v5, v[206:207] offset:10880                   // 00000000FC90: D89A2A80 0000CE05
	ds_write_b64 v4, v[208:209] offset:4352                    // 00000000FC98: D89A1100 0000D004
	ds_write_b64 v4, v[210:211] offset:13056                   // 00000000FCA0: D89A3300 0000D204
	ds_write_b64 v5, v[212:213] offset:4352                    // 00000000FCA8: D89A1100 0000D405
	ds_write_b64 v5, v[214:215] offset:13056                   // 00000000FCB0: D89A3300 0000D605
	ds_write_b64 v4, v[216:217] offset:6528                    // 00000000FCB8: D89A1980 0000D804
	ds_write_b64 v4, v[218:219] offset:15232                   // 00000000FCC0: D89A3B80 0000DA04
	ds_write_b64 v5, v[220:221] offset:6528                    // 00000000FCC8: D89A1980 0000DC05
	ds_write_b64 v5, v[222:223] offset:15232                   // 00000000FCD0: D89A3B80 0000DE05
	s_waitcnt lgkmcnt(0)                                       // 00000000FCD8: BF8CC07F
	s_barrier                                                  // 00000000FCDC: BF8A0000
	ds_read_b32 v64, v6                                        // 00000000FCE0: D86C0000 40000006
	ds_read_b32 v65, v6 offset:4352                            // 00000000FCE8: D86C1100 41000006
	ds_read_b32 v66, v6 offset:32                              // 00000000FCF0: D86C0020 42000006
	ds_read_b32 v67, v6 offset:4384                            // 00000000FCF8: D86C1120 43000006
	ds_read_b32 v68, v6 offset:64                              // 00000000FD00: D86C0040 44000006
	ds_read_b32 v69, v6 offset:4416                            // 00000000FD08: D86C1140 45000006
	ds_read_b32 v70, v6 offset:96                              // 00000000FD10: D86C0060 46000006
	ds_read_b32 v71, v6 offset:4448                            // 00000000FD18: D86C1160 47000006
	ds_read_b32 v72, v6 offset:8704                            // 00000000FD20: D86C2200 48000006
	ds_read_b32 v73, v6 offset:13056                           // 00000000FD28: D86C3300 49000006
	ds_read_b32 v74, v6 offset:8736                            // 00000000FD30: D86C2220 4A000006
	ds_read_b32 v75, v6 offset:13088                           // 00000000FD38: D86C3320 4B000006
	ds_read_b32 v76, v6 offset:8768                            // 00000000FD40: D86C2240 4C000006
	ds_read_b32 v77, v6 offset:13120                           // 00000000FD48: D86C3340 4D000006
	ds_read_b32 v78, v6 offset:8800                            // 00000000FD50: D86C2260 4E000006
	ds_read_b32 v79, v6 offset:13152                           // 00000000FD58: D86C3360 4F000006
	ds_read_b32 v80, v7                                        // 00000000FD60: D86C0000 50000007
	ds_read_b32 v81, v7 offset:4352                            // 00000000FD68: D86C1100 51000007
	ds_read_b32 v82, v7 offset:32                              // 00000000FD70: D86C0020 52000007
	ds_read_b32 v83, v7 offset:4384                            // 00000000FD78: D86C1120 53000007
	ds_read_b32 v84, v7 offset:64                              // 00000000FD80: D86C0040 54000007
	ds_read_b32 v85, v7 offset:4416                            // 00000000FD88: D86C1140 55000007
	ds_read_b32 v86, v7 offset:96                              // 00000000FD90: D86C0060 56000007
	ds_read_b32 v87, v7 offset:4448                            // 00000000FD98: D86C1160 57000007
	ds_read_b32 v88, v7 offset:8704                            // 00000000FDA0: D86C2200 58000007
	ds_read_b32 v89, v7 offset:13056                           // 00000000FDA8: D86C3300 59000007
	ds_read_b32 v90, v7 offset:8736                            // 00000000FDB0: D86C2220 5A000007
	ds_read_b32 v91, v7 offset:13088                           // 00000000FDB8: D86C3320 5B000007
	ds_read_b32 v92, v7 offset:8768                            // 00000000FDC0: D86C2240 5C000007
	ds_read_b32 v93, v7 offset:13120                           // 00000000FDC8: D86C3340 5D000007
	ds_read_b32 v94, v7 offset:8800                            // 00000000FDD0: D86C2260 5E000007
	ds_read_b32 v95, v7 offset:13152                           // 00000000FDD8: D86C3360 5F000007
	s_waitcnt lgkmcnt(0)                                       // 00000000FDE0: BF8CC07F
	s_setvskip s20, 0                                          // 00000000FDE4: BF108014
	global_atomic_pk_add_bf16 v96, v64, s[8:9]                 // 00000000FDE8: DD488000 00084060
	s_setvskip 0, 0                                            // 00000000FDF0: BF108080
	s_setvskip s20, 0                                          // 00000000FDF4: BF108014
	global_atomic_pk_add_bf16 v96, v65, s[8:9] offset:256      // 00000000FDF8: DD488100 00084160
	s_setvskip 0, 0                                            // 00000000FE00: BF108080
	s_setvskip s20, 1                                          // 00000000FE04: BF108114
	global_atomic_pk_add_bf16 v98, v66, s[8:9]                 // 00000000FE08: DD488000 00084262
	s_setvskip 0, 0                                            // 00000000FE10: BF108080
	s_setvskip s20, 1                                          // 00000000FE14: BF108114
	global_atomic_pk_add_bf16 v98, v67, s[8:9] offset:256      // 00000000FE18: DD488100 00084362
	s_setvskip 0, 0                                            // 00000000FE20: BF108080
	s_setvskip s20, 2                                          // 00000000FE24: BF108214
	global_atomic_pk_add_bf16 v100, v68, s[8:9]                // 00000000FE28: DD488000 00084464
	s_setvskip 0, 0                                            // 00000000FE30: BF108080
	s_setvskip s20, 2                                          // 00000000FE34: BF108214
	global_atomic_pk_add_bf16 v100, v69, s[8:9] offset:256     // 00000000FE38: DD488100 00084564
	s_setvskip 0, 0                                            // 00000000FE40: BF108080
	s_setvskip s20, 3                                          // 00000000FE44: BF108314
	global_atomic_pk_add_bf16 v102, v70, s[8:9]                // 00000000FE48: DD488000 00084666
	s_setvskip 0, 0                                            // 00000000FE50: BF108080
	s_setvskip s20, 3                                          // 00000000FE54: BF108314
	global_atomic_pk_add_bf16 v102, v71, s[8:9] offset:256     // 00000000FE58: DD488100 00084766
	s_setvskip 0, 0                                            // 00000000FE60: BF108080
	s_setvskip s20, 4                                          // 00000000FE64: BF108414
	global_atomic_pk_add_bf16 v104, v72, s[8:9]                // 00000000FE68: DD488000 00084868
	s_setvskip 0, 0                                            // 00000000FE70: BF108080
	s_setvskip s20, 4                                          // 00000000FE74: BF108414
	global_atomic_pk_add_bf16 v104, v73, s[8:9] offset:256     // 00000000FE78: DD488100 00084968
	s_setvskip 0, 0                                            // 00000000FE80: BF108080
	s_setvskip s20, 5                                          // 00000000FE84: BF108514
	global_atomic_pk_add_bf16 v106, v74, s[8:9]                // 00000000FE88: DD488000 00084A6A
	s_setvskip 0, 0                                            // 00000000FE90: BF108080
	s_setvskip s20, 5                                          // 00000000FE94: BF108514
	global_atomic_pk_add_bf16 v106, v75, s[8:9] offset:256     // 00000000FE98: DD488100 00084B6A
	s_setvskip 0, 0                                            // 00000000FEA0: BF108080
	s_setvskip s20, 6                                          // 00000000FEA4: BF108614
	global_atomic_pk_add_bf16 v108, v76, s[8:9]                // 00000000FEA8: DD488000 00084C6C
	s_setvskip 0, 0                                            // 00000000FEB0: BF108080
	s_setvskip s20, 6                                          // 00000000FEB4: BF108614
	global_atomic_pk_add_bf16 v108, v77, s[8:9] offset:256     // 00000000FEB8: DD488100 00084D6C
	s_setvskip 0, 0                                            // 00000000FEC0: BF108080
	s_setvskip s20, 7                                          // 00000000FEC4: BF108714
	global_atomic_pk_add_bf16 v110, v78, s[8:9]                // 00000000FEC8: DD488000 00084E6E
	s_setvskip 0, 0                                            // 00000000FED0: BF108080
	s_setvskip s20, 7                                          // 00000000FED4: BF108714
	global_atomic_pk_add_bf16 v110, v79, s[8:9] offset:256     // 00000000FED8: DD488100 00084F6E
	s_setvskip 0, 0                                            // 00000000FEE0: BF108080
	s_setvskip s20, 8                                          // 00000000FEE4: BF108814
	global_atomic_pk_add_bf16 v112, v80, s[8:9]                // 00000000FEE8: DD488000 00085070
	s_setvskip 0, 0                                            // 00000000FEF0: BF108080
	s_setvskip s20, 8                                          // 00000000FEF4: BF108814
	global_atomic_pk_add_bf16 v112, v81, s[8:9] offset:256     // 00000000FEF8: DD488100 00085170
	s_setvskip 0, 0                                            // 00000000FF00: BF108080
	s_setvskip s20, 9                                          // 00000000FF04: BF108914
	global_atomic_pk_add_bf16 v114, v82, s[8:9]                // 00000000FF08: DD488000 00085272
	s_setvskip 0, 0                                            // 00000000FF10: BF108080
	s_setvskip s20, 9                                          // 00000000FF14: BF108914
	global_atomic_pk_add_bf16 v114, v83, s[8:9] offset:256     // 00000000FF18: DD488100 00085372
	s_setvskip 0, 0                                            // 00000000FF20: BF108080
	s_setvskip s20, 10                                         // 00000000FF24: BF108A14
	global_atomic_pk_add_bf16 v116, v84, s[8:9]                // 00000000FF28: DD488000 00085474
	s_setvskip 0, 0                                            // 00000000FF30: BF108080
	s_setvskip s20, 10                                         // 00000000FF34: BF108A14
	global_atomic_pk_add_bf16 v116, v85, s[8:9] offset:256     // 00000000FF38: DD488100 00085574
	s_setvskip 0, 0                                            // 00000000FF40: BF108080
	s_setvskip s20, 11                                         // 00000000FF44: BF108B14
	global_atomic_pk_add_bf16 v118, v86, s[8:9]                // 00000000FF48: DD488000 00085676
	s_setvskip 0, 0                                            // 00000000FF50: BF108080
	s_setvskip s20, 11                                         // 00000000FF54: BF108B14
	global_atomic_pk_add_bf16 v118, v87, s[8:9] offset:256     // 00000000FF58: DD488100 00085776
	s_setvskip 0, 0                                            // 00000000FF60: BF108080
	s_setvskip s20, 12                                         // 00000000FF64: BF108C14
	global_atomic_pk_add_bf16 v120, v88, s[8:9]                // 00000000FF68: DD488000 00085878
	s_setvskip 0, 0                                            // 00000000FF70: BF108080
	s_setvskip s20, 12                                         // 00000000FF74: BF108C14
	global_atomic_pk_add_bf16 v120, v89, s[8:9] offset:256     // 00000000FF78: DD488100 00085978
	s_setvskip 0, 0                                            // 00000000FF80: BF108080
	s_setvskip s20, 13                                         // 00000000FF84: BF108D14
	global_atomic_pk_add_bf16 v122, v90, s[8:9]                // 00000000FF88: DD488000 00085A7A
	s_setvskip 0, 0                                            // 00000000FF90: BF108080
	s_setvskip s20, 13                                         // 00000000FF94: BF108D14
	global_atomic_pk_add_bf16 v122, v91, s[8:9] offset:256     // 00000000FF98: DD488100 00085B7A
	s_setvskip 0, 0                                            // 00000000FFA0: BF108080
	s_setvskip s20, 14                                         // 00000000FFA4: BF108E14
	global_atomic_pk_add_bf16 v124, v92, s[8:9]                // 00000000FFA8: DD488000 00085C7C
	s_setvskip 0, 0                                            // 00000000FFB0: BF108080
	s_setvskip s20, 14                                         // 00000000FFB4: BF108E14
	global_atomic_pk_add_bf16 v124, v93, s[8:9] offset:256     // 00000000FFB8: DD488100 00085D7C
	s_setvskip 0, 0                                            // 00000000FFC0: BF108080
	s_setvskip s20, 15                                         // 00000000FFC4: BF108F14
	global_atomic_pk_add_bf16 v126, v94, s[8:9]                // 00000000FFC8: DD488000 00085E7E
	s_setvskip 0, 0                                            // 00000000FFD0: BF108080
	s_setvskip s20, 15                                         // 00000000FFD4: BF108F14
	global_atomic_pk_add_bf16 v126, v95, s[8:9] offset:256     // 00000000FFD8: DD488100 00085F7E
	s_setvskip 0, 0                                            // 00000000FFE0: BF108080
	s_add_u32 s8, s55, s8                                      // 00000000FFE4: 80080837
	s_addc_u32 s9, 0, s9                                       // 00000000FFE8: 82090980
	s_addk_i32 s76, 0x100                                      // 00000000FFEC: B74C0100
	s_cmp_lt_i32 s76, s77                                      // 00000000FFF0: BF044D4C
	s_cbranch_scc0 label_1C2F                                  // 00000000FFF4: BF84E7B1
	s_branch label_2A48                                        // 00000000FFF8: BF82F5C9

000000000000fffc <label_347F>:
	s_waitcnt vmcnt(0) expcnt(0) lgkmcnt(0)                    // 00000000FFFC: BF8C0000
	s_endpgm                                                   // 000000010000: BF810000
